;; amdgpu-corpus repo=ROCm/aiter kind=harvested arch=n/a opt=n/a

/root/src/amdgpu-assembly/repos/ROCm__aiter/hsa/gfx950/fmoe_2stages/fmoe_stage1_bf16_pertokenFp8_blockscale_g1u1_32x256_2tg_pf2.co:	file format elf64-amdgpu

Disassembly of section .text:

0000000000002a00 <_ZN5aiter59fmoe_stage1_bf16_pertokenFp8_blockscale_g1u1_32x256_2tg_pf2E>:
	s_and_b32 s1, s1, 0xffff                                   // 000000002A00: 8601FF01 0000FFFF
	s_load_dwordx2 s[8:9], s[0:1], 0x0                         // 000000002A08: C0060200 00000000
	s_load_dwordx2 s[20:21], s[0:1], 0x10                      // 000000002A10: C0060500 00000010
	s_load_dwordx2 s[24:25], s[0:1], 0x20                      // 000000002A18: C0060600 00000020
	s_load_dwordx2 s[48:49], s[0:1], 0x30                      // 000000002A20: C0060C00 00000030
	s_load_dwordx2 s[28:29], s[0:1], 0x40                      // 000000002A28: C0060700 00000040
	s_load_dwordx2 s[32:33], s[0:1], 0x50                      // 000000002A30: C0060800 00000050
	s_load_dwordx2 s[36:37], s[0:1], 0x60                      // 000000002A38: C0060900 00000060
	s_load_dwordx2 s[12:13], s[0:1], 0x70                      // 000000002A40: C0060300 00000070
	s_load_dwordx2 s[44:45], s[0:1], 0x80                      // 000000002A48: C0060B00 00000080
	s_mov_b32 s89, 0                                           // 000000002A50: BED90080
	s_load_dword s64, s[0:1], 0x90                             // 000000002A54: C0021000 00000090
	s_load_dword s65, s[0:1], 0xa0                             // 000000002A5C: C0021040 000000A0
	s_load_dword s66, s[0:1], 0xb0                             // 000000002A64: C0021080 000000B0
	s_load_dword s67, s[0:1], 0xc0                             // 000000002A6C: C00210C0 000000C0
	s_load_dword s68, s[0:1], 0xd0                             // 000000002A74: C0021100 000000D0
	s_load_dword s69, s[0:1], 0xe0                             // 000000002A7C: C0021140 000000E0
	s_load_dword s71, s[0:1], 0xf0                             // 000000002A84: C00211C0 000000F0
	s_load_dword s72, s[0:1], 0x100                            // 000000002A8C: C0021200 00000100
	s_load_dword s74, s[0:1], 0x110                            // 000000002A94: C0021280 00000110
	s_load_dword s76, s[0:1], 0x120                            // 000000002A9C: C0021300 00000120
	s_load_dword s56, s[0:1], 0x130                            // 000000002AA4: C0020E00 00000130
	s_load_dword s88, s[0:1], 0x140                            // 000000002AAC: C0021600 00000140
	s_load_dword s89, s[0:1], 0x150                            // 000000002AB4: C0021640 00000150
	v_lshrrev_b32_e32 v1, 10, v0                               // 000000002ABC: 2002008A
	v_lshrrev_b32_e32 v2, 10, v1                               // 000000002AC0: 2004028A
	v_and_b32_e32 v2, 0x3ff, v2                                // 000000002AC4: 260404FF 000003FF
	v_and_b32_e32 v1, 0x3ff, v1                                // 000000002ACC: 260202FF 000003FF
	v_and_b32_e32 v0, 0x3ff, v0                                // 000000002AD4: 260000FF 000003FF
	v_lshrrev_b32_e32 v3, 6, v0                                // 000000002ADC: 20060086
	v_and_b32_e32 v0, 63, v0                                   // 000000002AE0: 260000BF
	s_mov_b32 s2, s2                                           // 000000002AE4: BE820002
	s_mov_b32 s3, s3                                           // 000000002AE8: BE830003
	s_mov_b32 s4, s4                                           // 000000002AEC: BE840004
	v_readfirstlane_b32 s7, v3                                 // 000000002AF0: 7E0E0503
	s_waitcnt lgkmcnt(0)                                       // 000000002AF4: BF8CC07F
	s_and_b32 s49, s49, 0xffff                                 // 000000002AF8: 8631FF31 0000FFFF
	s_load_dword s48, s[48:49], 0x0                            // 000000002B00: C0020C18 00000000
	s_and_b32 s45, s45, 0xffff                                 // 000000002B08: 862DFF2D 0000FFFF
	s_and_b32 s9, s9, 0xffff                                   // 000000002B10: 8609FF09 0000FFFF
	s_mul_i32 s60, s66, s68                                    // 000000002B18: 923C4442
	s_mul_i32 s61, s66, 4                                      // 000000002B1C: 923D8442
	s_mov_b32 s22, s60                                         // 000000002B20: BE96003C
	s_mov_b32 s26, -16                                         // 000000002B24: BE9A00D0
	s_mov_b32 s30, s61                                         // 000000002B28: BE9E003D
	s_mov_b32 s14, 0x80                                        // 000000002B2C: BE8E00FF 00000080
	s_mov_b32 s38, -16                                         // 000000002B34: BEA600D0
	s_mov_b32 s10, -16                                         // 000000002B38: BE8A00D0
	s_lshr_b32 s60, s64, 7                                     // 000000002B3C: 8F3C8740
	s_mul_i32 s61, s60, 4                                      // 000000002B40: 923D843C
	s_lshr_b32 s60, s65, 7                                     // 000000002B44: 8F3C8741
	s_add_u32 s60, s60, 2                                      // 000000002B48: 803C823C
	s_mul_i32 s60, s60, s61                                    // 000000002B4C: 923C3D3C
	s_mov_b32 s34, s60                                         // 000000002B50: BEA2003C
	s_mov_b32 s23, 0x20000                                     // 000000002B54: BE9700FF 00020000
	s_mov_b32 s27, 0x20000                                     // 000000002B5C: BE9B00FF 00020000
	s_mov_b32 s31, 0x20000                                     // 000000002B64: BE9F00FF 00020000
	s_mov_b32 s35, 0x20000                                     // 000000002B6C: BEA300FF 00020000
	s_mov_b32 s15, 0x20000                                     // 000000002B74: BE8F00FF 00020000
	s_mov_b32 s39, 0x20000                                     // 000000002B7C: BEA700FF 00020000
	s_mov_b32 s11, 0x20000                                     // 000000002B84: BE8B00FF 00020000
	s_and_b32 s21, s21, 0xffff                                 // 000000002B8C: 8615FF15 0000FFFF
	s_and_b32 s25, s25, 0xffff                                 // 000000002B94: 8619FF19 0000FFFF
	s_and_b32 s29, s29, 0xffff                                 // 000000002B9C: 861DFF1D 0000FFFF
	s_and_b32 s33, s33, 0xffff                                 // 000000002BA4: 8621FF21 0000FFFF
	s_and_b32 s13, s13, 0xffff                                 // 000000002BAC: 860DFF0D 0000FFFF
	s_and_b32 s37, s37, 0xffff                                 // 000000002BB4: 8625FF25 0000FFFF
	s_or_b32 s21, s21, 0x40000                                 // 000000002BBC: 8715FF15 00040000
	s_or_b32 s25, s25, 0x40000                                 // 000000002BC4: 8719FF19 00040000
	s_or_b32 s29, s29, 0x40000                                 // 000000002BCC: 871DFF1D 00040000
	s_or_b32 s33, s33, 0x40000                                 // 000000002BD4: 8721FF21 00040000
	s_or_b32 s13, s13, 0x40000                                 // 000000002BDC: 870DFF0D 00040000
	s_or_b32 s37, s37, 0x40000                                 // 000000002BE4: 8725FF25 00040000
	v_accvgpr_write_b32 a95, 0                                 // 000000002BEC: D3D9405F 18000080
	v_mov_b32_e32 v107, 0                                      // 000000002BF4: 7ED60280
	s_waitcnt lgkmcnt(0)                                       // 000000002BF8: BF8CC07F
	s_mul_i32 s60, s3, 32                                      // 000000002BFC: 923CA003
	s_cmp_lt_i32 s60, s48                                      // 000000002C00: BF04303C
	s_cbranch_scc0 label_1710                                  // 000000002C04: BF84168B
	s_mov_b32 s80, 0                                           // 000000002C08: BED00080
	s_lshr_b32 s81, s64, s88                                   // 000000002C0C: 8F515840
	s_mul_i32 s60, s3, 4                                       // 000000002C10: 923C8403
	s_add_u32 s44, s60, s44                                    // 000000002C14: 802C2C3C
	s_addc_u32 s45, 0, s45                                     // 000000002C18: 822D2D80
	s_load_dword s5, s[44:45], 0x0                             // 000000002C1C: C0020156 00000000
	s_mul_i32 s60, s3, 32                                      // 000000002C24: 923CA003
	s_mul_i32 s60, 4, s60                                      // 000000002C28: 923C3C84
	s_add_u32 s12, s60, s12                                    // 000000002C2C: 800C0C3C
	s_addc_u32 s13, 0, s13                                     // 000000002C30: 820D0D80
	v_and_b32_e32 v4, 15, v0                                   // 000000002C34: 2608008F
	v_lshlrev_b32_e32 v4, 2, v4                                // 000000002C38: 24080882
	buffer_load_dword v28, v4, s[12:15], 0 offen               // 000000002C3C: E0501000 80031C04
	v_add_u32_e32 v4, 64, v4                                   // 000000002C44: 680808C0
	buffer_load_dword v29, v4, s[12:15], 0 offen               // 000000002C48: E0501000 80031D04
	v_add_u32_e32 v4, 64, v4                                   // 000000002C50: 680808C0
	s_mul_i32 s60, 4, s7                                       // 000000002C54: 923C0784
	v_lshlrev_b32_e32 v4, 4, v0                                // 000000002C58: 24080084
	v_add_u32_e32 v4, s60, v4                                  // 000000002C5C: 6808083C
	buffer_load_dword v3, v4, s[12:15], 0 offen                // 000000002C60: E0501000 80030304
	v_mov_b32_e32 v44, 0                                       // 000000002C68: 7E580280
	v_mov_b32_e32 v76, 0                                       // 000000002C6C: 7E980280
	v_mov_b32_e32 v45, 0                                       // 000000002C70: 7E5A0280
	v_mov_b32_e32 v77, 0                                       // 000000002C74: 7E9A0280
	v_mov_b32_e32 v46, 0                                       // 000000002C78: 7E5C0280
	v_mov_b32_e32 v78, 0                                       // 000000002C7C: 7E9C0280
	v_mov_b32_e32 v47, 0                                       // 000000002C80: 7E5E0280
	v_mov_b32_e32 v79, 0                                       // 000000002C84: 7E9E0280
	v_mov_b32_e32 v48, 0                                       // 000000002C88: 7E600280
	v_mov_b32_e32 v80, 0                                       // 000000002C8C: 7EA00280
	v_mov_b32_e32 v49, 0                                       // 000000002C90: 7E620280
	v_mov_b32_e32 v81, 0                                       // 000000002C94: 7EA20280
	v_mov_b32_e32 v50, 0                                       // 000000002C98: 7E640280
	v_mov_b32_e32 v82, 0                                       // 000000002C9C: 7EA40280
	v_mov_b32_e32 v51, 0                                       // 000000002CA0: 7E660280
	v_mov_b32_e32 v83, 0                                       // 000000002CA4: 7EA60280
	v_mov_b32_e32 v52, 0                                       // 000000002CA8: 7E680280
	v_mov_b32_e32 v84, 0                                       // 000000002CAC: 7EA80280
	v_mov_b32_e32 v53, 0                                       // 000000002CB0: 7E6A0280
	v_mov_b32_e32 v85, 0                                       // 000000002CB4: 7EAA0280
	v_mov_b32_e32 v54, 0                                       // 000000002CB8: 7E6C0280
	v_mov_b32_e32 v86, 0                                       // 000000002CBC: 7EAC0280
	v_mov_b32_e32 v55, 0                                       // 000000002CC0: 7E6E0280
	v_mov_b32_e32 v87, 0                                       // 000000002CC4: 7EAE0280
	v_mov_b32_e32 v56, 0                                       // 000000002CC8: 7E700280
	v_mov_b32_e32 v88, 0                                       // 000000002CCC: 7EB00280
	v_mov_b32_e32 v57, 0                                       // 000000002CD0: 7E720280
	v_mov_b32_e32 v89, 0                                       // 000000002CD4: 7EB20280
	v_mov_b32_e32 v58, 0                                       // 000000002CD8: 7E740280
	v_mov_b32_e32 v90, 0                                       // 000000002CDC: 7EB40280
	v_mov_b32_e32 v59, 0                                       // 000000002CE0: 7E760280
	v_mov_b32_e32 v91, 0                                       // 000000002CE4: 7EB60280
	v_mov_b32_e32 v60, 0                                       // 000000002CE8: 7E780280
	v_mov_b32_e32 v92, 0                                       // 000000002CEC: 7EB80280
	v_mov_b32_e32 v61, 0                                       // 000000002CF0: 7E7A0280
	v_mov_b32_e32 v93, 0                                       // 000000002CF4: 7EBA0280
	v_mov_b32_e32 v62, 0                                       // 000000002CF8: 7E7C0280
	v_mov_b32_e32 v94, 0                                       // 000000002CFC: 7EBC0280
	v_mov_b32_e32 v63, 0                                       // 000000002D00: 7E7E0280
	v_mov_b32_e32 v95, 0                                       // 000000002D04: 7EBE0280
	v_mov_b32_e32 v64, 0                                       // 000000002D08: 7E800280
	v_mov_b32_e32 v96, 0                                       // 000000002D0C: 7EC00280
	v_mov_b32_e32 v65, 0                                       // 000000002D10: 7E820280
	v_mov_b32_e32 v97, 0                                       // 000000002D14: 7EC20280
	v_mov_b32_e32 v66, 0                                       // 000000002D18: 7E840280
	v_mov_b32_e32 v98, 0                                       // 000000002D1C: 7EC40280
	v_mov_b32_e32 v67, 0                                       // 000000002D20: 7E860280
	v_mov_b32_e32 v99, 0                                       // 000000002D24: 7EC60280
	v_mov_b32_e32 v68, 0                                       // 000000002D28: 7E880280
	v_mov_b32_e32 v100, 0                                      // 000000002D2C: 7EC80280
	v_mov_b32_e32 v69, 0                                       // 000000002D30: 7E8A0280
	v_mov_b32_e32 v101, 0                                      // 000000002D34: 7ECA0280
	v_mov_b32_e32 v70, 0                                       // 000000002D38: 7E8C0280
	v_mov_b32_e32 v102, 0                                      // 000000002D3C: 7ECC0280
	v_mov_b32_e32 v71, 0                                       // 000000002D40: 7E8E0280
	v_mov_b32_e32 v103, 0                                      // 000000002D44: 7ECE0280
	v_mov_b32_e32 v72, 0                                       // 000000002D48: 7E900280
	v_mov_b32_e32 v104, 0                                      // 000000002D4C: 7ED00280
	v_mov_b32_e32 v73, 0                                       // 000000002D50: 7E920280
	v_mov_b32_e32 v105, 0                                      // 000000002D54: 7ED20280
	v_mov_b32_e32 v74, 0                                       // 000000002D58: 7E940280
	v_mov_b32_e32 v106, 0                                      // 000000002D5C: 7ED40280
	v_mov_b32_e32 v75, 0                                       // 000000002D60: 7E960280
	v_mov_b32_e32 v107, 0                                      // 000000002D64: 7ED60280
	s_mul_i32 s60, s2, 0x100                                   // 000000002D68: 923CFF02 00000100
	s_cmp_eq_u32 s88, 0                                        // 000000002D70: BF068058
	s_cselect_b32 s61, 1, 4                                    // 000000002D74: 853D8481
	s_mul_i32 s60, s60, s61                                    // 000000002D78: 923C3D3C
	s_mov_b32 s90, s8                                          // 000000002D7C: BEDA0008
	s_mov_b32 s91, s9                                          // 000000002D80: BEDB0009
	s_add_u32 s8, s60, s8                                      // 000000002D84: 8008083C
	s_addc_u32 s9, 0, s9                                       // 000000002D88: 82090980
	v_lshrrev_b32_e32 v4, 4, v0                                // 000000002D8C: 20080084
	v_mul_lo_u32 v20, 34, v4                                   // 000000002D90: D2850014 000208A2
	v_and_b32_e32 v4, 15, v0                                   // 000000002D98: 2608008F
	v_mul_lo_u32 v5, 2, v4                                     // 000000002D9C: D2850005 00020882
	v_add_u32_e32 v20, v5, v20                                 // 000000002DA4: 68282905
	s_mul_i32 s60, s7, 0x88                                    // 000000002DA8: 923CFF07 00000088
	v_add_u32_e32 v20, s60, v20                                // 000000002DB0: 6828283C
	v_lshlrev_b32_e32 v20, 2, v20                              // 000000002DB4: 24282882
	v_and_b32_e32 v4, 31, v0                                   // 000000002DB8: 2608009F
	v_lshrrev_b32_e32 v4, 1, v4                                // 000000002DBC: 20080881
	v_mul_lo_u32 v21, 34, v4                                   // 000000002DC0: D2850015 000208A2
	v_lshrrev_b32_e32 v4, 5, v0                                // 000000002DC8: 20080085
	v_mul_lo_u32 v4, 8, v4                                     // 000000002DCC: D2850004 00020888
	v_add_u32_e32 v21, v21, v4                                 // 000000002DD4: 682A0915
	v_and_b32_e32 v5, 1, v0                                    // 000000002DD8: 260A0081
	v_add_u32_e32 v21, v5, v21                                 // 000000002DDC: 682A2B05
	s_mul_i32 s60, s7, 2                                       // 000000002DE0: 923C8207
	v_add_u32_e32 v21, s60, v21                                // 000000002DE4: 682A2A3C
	v_lshlrev_b32_e32 v21, 2, v21                              // 000000002DE8: 242A2A82
	s_mul_i32 s60, s7, 0x420                                   // 000000002DEC: 923CFF07 00000420
	s_add_u32 s48, 0, s60                                      // 000000002DF4: 80303C80
	s_add_u32 s49, 0x1080, s48                                 // 000000002DF8: 803130FF 00001080
	v_lshrrev_b32_e32 v4, 4, v0                                // 000000002E00: 20080084
	v_lshlrev_b32_e32 v5, 2, v4                                // 000000002E04: 240A0882
	v_and_b32_e32 v4, 15, v0                                   // 000000002E08: 2608008F
	v_lshrrev_b32_e32 v6, 2, v4                                // 000000002E0C: 200C0882
	v_lshlrev_b32_e32 v6, 5, v6                                // 000000002E10: 240C0C85
	v_add_u32_e32 v5, v6, v5                                   // 000000002E14: 680A0B06
	v_and_b32_e32 v4, 3, v0                                    // 000000002E18: 26080083
	v_mul_u32_u24_e32 v6, 0x108, v4                            // 000000002E1C: 100C08FF 00000108
	v_add_u32_e32 v5, v6, v5                                   // 000000002E24: 680A0B06
	v_lshlrev_b32_e32 v2, 2, v5                                // 000000002E28: 24040A82
	s_waitcnt lgkmcnt(0)                                       // 000000002E2C: BF8CC07F
	s_mul_i32 s60, s2, 0x100                                   // 000000002E30: 923CFF02 00000100
	s_mul_i32 s60, s60, s69                                    // 000000002E38: 923C453C
	s_mul_i32 s61, s5, s72                                     // 000000002E3C: 923D4805
	s_add_u32 s60, s61, s60                                    // 000000002E40: 803C3C3D
	s_add_u32 s24, s60, s24                                    // 000000002E44: 8018183C
	s_addc_u32 s25, 0, s25                                     // 000000002E48: 82191980
	s_lshr_b32 s60, s64, s88                                   // 000000002E4C: 8F3C5840
	s_mul_i32 s60, s4, s60                                     // 000000002E50: 923C3C04
	s_lshr_b32 s60, s60, 7                                     // 000000002E54: 8F3C873C
	s_mul_i32 s60, s60, 0x800                                  // 000000002E58: 923CFF3C 00000800
	s_add_u32 s24, s60, s24                                    // 000000002E60: 8018183C
	s_addc_u32 s25, 0, s25                                     // 000000002E64: 82191980
	s_lshr_b32 s60, s69, s88                                   // 000000002E68: 8F3C5845
	s_mul_i32 s60, s4, s60                                     // 000000002E6C: 923C3C04
	s_add_u32 s20, s60, s20                                    // 000000002E70: 8014143C
	s_addc_u32 s21, 0, s21                                     // 000000002E74: 82151580
	s_mul_i32 s60, s7, 16                                      // 000000002E78: 923C9007
	s_mul_i32 s60, s60, s69                                    // 000000002E7C: 923C453C
	v_lshlrev_b32_e32 v40, 4, v0                               // 000000002E80: 24500084
	v_add_u32_e32 v40, s60, v40                                // 000000002E84: 6850503C
	s_mul_i32 s60, 64, s69                                     // 000000002E88: 923C45C0
	v_add_u32_e32 v41, s60, v40                                // 000000002E8C: 6852503C
	v_add_u32_e32 v42, s60, v41                                // 000000002E90: 6854523C
	v_add_u32_e32 v43, s60, v42                                // 000000002E94: 6856543C
	s_mov_b32 s84, s24                                         // 000000002E98: BED40018
	s_mov_b32 s85, s25                                         // 000000002E9C: BED50019
	s_mov_b32 s86, s26                                         // 000000002EA0: BED6001A
	s_mov_b32 s87, s27                                         // 000000002EA4: BED7001B
	s_mul_i32 s60, s69, s65                                    // 000000002EA8: 923C4145
	s_add_u32 s84, s60, s84                                    // 000000002EAC: 8054543C
	s_addc_u32 s85, 0, s85                                     // 000000002EB0: 82555580
	s_lshr_b32 s60, s64, 7                                     // 000000002EB4: 8F3C8740
	s_mul_i32 s61, s60, 4                                      // 000000002EB8: 923D843C
	v_and_b32_e32 v22, 15, v0                                  // 000000002EBC: 262C008F
	v_mul_lo_u32 v22, v22, s61                                 // 000000002EC0: D2850016 00007B16
	s_lshr_b32 s60, s65, 7                                     // 000000002EC8: 8F3C8741
	s_mul_i32 s60, s60, s61                                    // 000000002ECC: 923C3D3C
	v_add_u32_e64 v23, v22, s60                                // 000000002ED0: D1340017 00007916
	s_mul_i32 s60, s2, 2                                       // 000000002ED8: 923C8202
	s_mul_i32 s60, s60, s61                                    // 000000002EDC: 923C3D3C
	s_mul_i32 s61, s5, s74                                     // 000000002EE0: 923D4A05
	s_add_u32 s61, s61, s60                                    // 000000002EE4: 803D3C3D
	s_add_u32 s32, s61, s32                                    // 000000002EE8: 8020203D
	s_addc_u32 s33, 0, s33                                     // 000000002EEC: 82212180
	s_lshr_b32 s60, s64, 7                                     // 000000002EF0: 8F3C8740
	s_lshr_b32 s60, s60, s88                                   // 000000002EF4: 8F3C583C
	s_mul_i32 s60, s4, s60                                     // 000000002EF8: 923C3C04
	s_mul_i32 s61, s60, 4                                      // 000000002EFC: 923D843C
	s_add_u32 s32, s61, s32                                    // 000000002F00: 8020203D
	s_addc_u32 s33, 0, s33                                     // 000000002F04: 82212180
	s_lshl_b32 s62, s66, 2                                     // 000000002F08: 8E3E8242
	s_mul_i32 s62, s60, s62                                    // 000000002F0C: 923E3E3C
	s_add_u32 s28, s62, s28                                    // 000000002F10: 801C1C3E
	s_addc_u32 s29, 0, s29                                     // 000000002F14: 821D1D80
	s_mov_b32 s4, 4                                            // 000000002F18: BE840084
	s_mov_b32 s57, 0x80                                        // 000000002F1C: BEB900FF 00000080
	s_mov_b32 s58, 0x800                                       // 000000002F24: BEBA00FF 00000800
	s_mov_b32 s83, s58                                         // 000000002F2C: BED3003A
	s_mov_b32 s52, 0x7060302                                   // 000000002F30: BEB400FF 07060302
	s_mov_b32 s53, 0x400                                       // 000000002F38: BEB500FF 00000400
	s_mov_b32 s54, 0x40100                                     // 000000002F40: BEB600FF 00040100
	s_mov_b32 s55, 0x4020100                                   // 000000002F48: BEB700FF 04020100
	s_mov_b32 s6, 0x3fb8aa3b                                   // 000000002F50: BE8600FF 3FB8AA3B
	s_mov_b32 s78, 0xbd92220c                                  // 000000002F58: BECE00FF BD92220C
	s_mov_b32 s79, 0xbd92220c                                  // 000000002F60: BECF00FF BD92220C
	s_mov_b32 m0, s48                                          // 000000002F68: BEFC0030
	v_mov_b32_e32 v1, 0xbfcc4231                               // 000000002F6C: 7E0202FF BFCC4231
	v_mov_b32_e32 v17, 0xffff0000                              // 000000002F74: 7E2202FF FFFF0000
	v_mov_b32_e32 v18, 0x7fff0000                              // 000000002F7C: 7E2402FF 7FFF0000
	v_mov_b32_e32 v19, 0x7fff                                  // 000000002F84: 7E2602FF 00007FFF
	s_waitcnt vmcnt(0) expcnt(0) lgkmcnt(0)                    // 000000002F8C: BF8C0000
	v_lshrrev_b32_e32 v4, 5, v0                                // 000000002F90: 20080085
	v_xor_b32_e32 v5, 1, v4                                    // 000000002F94: 2A0A0881
	v_readlane_b32 s82, v3, 0                                  // 000000002F98: D2890052 00010103
	s_and_b32 s82, s82, 0xffffff                               // 000000002FA0: 8652FF52 00FFFFFF
	v_mul_lo_u32 v6, v5, s82                                   // 000000002FA8: D2850006 0000A505
	v_readlane_b32 s82, v3, 1                                  // 000000002FB0: D2890052 00010303
	s_and_b32 s82, s82, 0xffffff                               // 000000002FB8: 8652FF52 00FFFFFF
	v_mul_lo_u32 v7, v4, s82                                   // 000000002FC0: D2850007 0000A504
	v_add_u32_e32 v36, v6, v7                                  // 000000002FC8: 68480F06
	v_mul_lo_u32 v36, v36, s68                                 // 000000002FCC: D2850024 00008924
	v_readlane_b32 s82, v3, 2                                  // 000000002FD4: D2890052 00010503
	s_and_b32 s82, s82, 0xffffff                               // 000000002FDC: 8652FF52 00FFFFFF
	v_mul_lo_u32 v6, v5, s82                                   // 000000002FE4: D2850006 0000A505
	v_readlane_b32 s82, v3, 3                                  // 000000002FEC: D2890052 00010703
	s_and_b32 s82, s82, 0xffffff                               // 000000002FF4: 8652FF52 00FFFFFF
	v_mul_lo_u32 v7, v4, s82                                   // 000000002FFC: D2850007 0000A504
	v_add_u32_e32 v37, v6, v7                                  // 000000003004: 684A0F06
	v_mul_lo_u32 v37, v37, s68                                 // 000000003008: D2850025 00008925
	v_readlane_b32 s82, v3, 4                                  // 000000003010: D2890052 00010903
	s_and_b32 s82, s82, 0xffffff                               // 000000003018: 8652FF52 00FFFFFF
	v_mul_lo_u32 v6, v5, s82                                   // 000000003020: D2850006 0000A505
	v_readlane_b32 s82, v3, 5                                  // 000000003028: D2890052 00010B03
	s_and_b32 s82, s82, 0xffffff                               // 000000003030: 8652FF52 00FFFFFF
	v_mul_lo_u32 v7, v4, s82                                   // 000000003038: D2850007 0000A504
	v_add_u32_e32 v38, v6, v7                                  // 000000003040: 684C0F06
	v_mul_lo_u32 v38, v38, s68                                 // 000000003044: D2850026 00008926
	v_readlane_b32 s82, v3, 6                                  // 00000000304C: D2890052 00010D03
	s_and_b32 s82, s82, 0xffffff                               // 000000003054: 8652FF52 00FFFFFF
	v_mul_lo_u32 v6, v5, s82                                   // 00000000305C: D2850006 0000A505
	v_readlane_b32 s82, v3, 7                                  // 000000003064: D2890052 00010F03
	s_and_b32 s82, s82, 0xffffff                               // 00000000306C: 8652FF52 00FFFFFF
	v_mul_lo_u32 v7, v4, s82                                   // 000000003074: D2850007 0000A504
	v_add_u32_e32 v39, v6, v7                                  // 00000000307C: 684E0F06
	v_mul_lo_u32 v39, v39, s68                                 // 000000003080: D2850027 00008927
	v_and_b32_e32 v4, 31, v0                                   // 000000003088: 2608009F
	v_lshlrev_b32_e32 v4, 2, v4                                // 00000000308C: 24080882
	v_add_u32_e32 v36, v36, v4                                 // 000000003090: 68480924
	v_add_u32_e32 v37, v37, v4                                 // 000000003094: 684A0925
	v_add_u32_e32 v38, v38, v4                                 // 000000003098: 684C0926
	v_add_u32_e32 v39, v39, v4                                 // 00000000309C: 684E0927
	v_and_b32_e32 v28, 0xffffff, v28                           // 0000000030A0: 263838FF 00FFFFFF
	v_lshlrev_b32_e32 v28, 2, v28                              // 0000000030A8: 24383882
	v_and_b32_e32 v29, 0xffffff, v29                           // 0000000030AC: 263A3AFF 00FFFFFF
	v_lshlrev_b32_e32 v29, 2, v29                              // 0000000030B4: 243A3A82
	s_lshl_b32 s3, s66, 2                                      // 0000000030B8: 8E038242
	buffer_load_dword v36, s[20:23], 0 offen lds               // 0000000030BC: E0511000 80050024
	s_add_u32 m0, 0x100, s48                                   // 0000000030C4: 807C30FF 00000100
	buffer_load_dword v37, s[20:23], 0 offen lds               // 0000000030CC: E0511000 80050025
	s_add_u32 m0, 0x200, s48                                   // 0000000030D4: 807C30FF 00000200
	buffer_load_dword v38, s[20:23], 0 offen lds               // 0000000030DC: E0511000 80050026
	s_add_u32 m0, 0x300, s48                                   // 0000000030E4: 807C30FF 00000300
	buffer_load_dword v39, s[20:23], 0 offen lds               // 0000000030EC: E0511000 80050027
	s_add_u32 m0, 0, s49                                       // 0000000030F4: 807C3180
	s_add_u32 s20, s57, s20                                    // 0000000030F8: 80141439
	s_addc_u32 s21, 0, s21                                     // 0000000030FC: 82151580
	buffer_load_dword v30, v28, s[28:31], 0 offen              // 000000003100: E0501000 80071E1C
	buffer_load_dword v31, v29, s[28:31], 0 offen              // 000000003108: E0501000 80071F1D
	s_add_u32 s28, s3, s28                                     // 000000003110: 801C1C03
	s_addc_u32 s29, 0, s29                                     // 000000003114: 821D1D80
	buffer_load_dword v36, s[20:23], 0 offen lds               // 000000003118: E0511000 80050024
	s_add_u32 m0, 0x100, s49                                   // 000000003120: 807C31FF 00000100
	buffer_load_dword v37, s[20:23], 0 offen lds               // 000000003128: E0511000 80050025
	s_add_u32 m0, 0x200, s49                                   // 000000003130: 807C31FF 00000200
	;; [unrolled: 2-line block ×3, first 2 shown]
	buffer_load_dword v39, s[20:23], 0 offen lds               // 000000003148: E0511000 80050027
	s_add_u32 m0, 0, s48                                       // 000000003150: 807C3080
	s_add_u32 s20, s57, s20                                    // 000000003154: 80141439
	s_addc_u32 s21, 0, s21                                     // 000000003158: 82151580
	buffer_load_dword v32, v28, s[28:31], 0 offen              // 00000000315C: E0501000 8007201C
	buffer_load_dword v33, v29, s[28:31], 0 offen              // 000000003164: E0501000 8007211D
	s_add_u32 s28, s3, s28                                     // 00000000316C: 801C1C03
	s_addc_u32 s29, 0, s29                                     // 000000003170: 821D1D80
	buffer_load_dword v24, v22, s[32:35], 0 offen              // 000000003174: E0501000 80081816
	buffer_load_dwordx4 a[32:35], v40, s[24:27], 0 offen       // 00000000317C: E05C1000 80862028
	buffer_load_dwordx4 a[36:39], v40, s[24:27], 0 offen offset:1024// 000000003184: E05C1400 80862428
	buffer_load_dwordx4 a[40:43], v41, s[24:27], 0 offen       // 00000000318C: E05C1000 80862829
	buffer_load_dwordx4 a[44:47], v41, s[24:27], 0 offen offset:1024// 000000003194: E05C1400 80862C29
	buffer_load_dwordx4 a[48:51], v42, s[24:27], 0 offen       // 00000000319C: E05C1000 8086302A
	buffer_load_dwordx4 a[52:55], v42, s[24:27], 0 offen offset:1024// 0000000031A4: E05C1400 8086342A
	buffer_load_dwordx4 a[56:59], v43, s[24:27], 0 offen       // 0000000031AC: E05C1000 8086382B
	buffer_load_dwordx4 a[60:63], v43, s[24:27], 0 offen offset:1024// 0000000031B4: E05C1400 80863C2B
	s_add_u32 s24, s58, s24                                    // 0000000031BC: 8018183A
	s_addc_u32 s25, 0, s25                                     // 0000000031C0: 82191980
	s_waitcnt vmcnt(17)                                        // 0000000031C4: BF8C4F71
	s_barrier                                                  // 0000000031C8: BF8A0000
	ds_read_b128 a[0:3], v2                                    // 0000000031CC: DBFE0000 00000002
	ds_read_b128 a[4:7], v2 offset:64                          // 0000000031D4: DBFE0040 04000002
	ds_read_b128 a[8:11], v2 offset:512                        // 0000000031DC: DBFE0200 08000002
	ds_read_b128 a[12:15], v2 offset:576                       // 0000000031E4: DBFE0240 0C000002
	s_cmp_lt_i32 s7, 2                                         // 0000000031EC: BF048207
	s_cbranch_scc0 label_0C88                                  // 0000000031F0: BF840A88

00000000000031f4 <label_01FD>:
	s_waitcnt vmcnt(6) lgkmcnt(0)                              // 0000000031F4: BF8C0076
	s_barrier                                                  // 0000000031F8: BF8A0000
	v_mov_b32_e32 v34, v30                                     // 0000000031FC: 7E44031E
	v_mov_b32_e32 v35, v31                                     // 000000003200: 7E46031F
	v_mul_f32_dpp v4, v24, v34 row_newbcast:0 row_mask:0xf bank_mask:0xf// 000000003204: 0A0844FA FF015018
	v_mfma_f32_16x16x32_fp8_fp8 v[8:11], a[32:33], a[0:1], 0   // 00000000320C: D3F30008 1A020120
	buffer_load_dword v27, v23, s[32:35], 0 offen              // 000000003214: E0501000 80081B17
	v_mfma_f32_16x16x32_fp8_fp8 v[8:11], a[34:35], a[2:3], v[8:11]// 00000000321C: D3F30008 1C220522
	buffer_load_dwordx4 a[64:67], v40, s[84:87], 0 offen       // 000000003224: E05C1000 80954028
	v_mfma_f32_16x16x32_fp8_fp8 v[8:11], a[36:37], a[4:5], v[8:11]// 00000000322C: D3F30008 1C220924
	v_mfma_f32_16x16x32_fp8_fp8 v[8:11], a[38:39], a[6:7], v[8:11]// 000000003234: D3F30008 1C220D26
	v_mul_f32_dpp v6, v24, v35 row_newbcast:0 row_mask:0xf bank_mask:0xf// 00000000323C: 0A0C46FA FF015018
	v_mfma_f32_16x16x32_fp8_fp8 v[12:15], a[32:33], a[8:9], 0  // 000000003244: D3F3000C 1A021120
	v_mfma_f32_16x16x32_fp8_fp8 v[12:15], a[34:35], a[10:11], v[12:15]// 00000000324C: D3F3000C 1C321522
	buffer_load_dwordx4 a[68:71], v40, s[84:87], 0 offen offset:1024// 000000003254: E05C1400 80954428
	v_mfma_f32_16x16x32_fp8_fp8 v[12:15], a[36:37], a[12:13], v[12:15]// 00000000325C: D3F3000C 1C321924
	v_mfma_f32_16x16x32_fp8_fp8 v[12:15], a[38:39], a[14:15], v[12:15]// 000000003264: D3F3000C 1C321D26
	v_fma_f32 v44, v8, v4, v44                                 // 00000000326C: D1CB002C 04B20908
	v_fma_f32 v45, v9, v4, v45                                 // 000000003274: D1CB002D 04B60909
	v_fma_f32 v46, v10, v4, v46                                // 00000000327C: D1CB002E 04BA090A
	v_fma_f32 v47, v11, v4, v47                                // 000000003284: D1CB002F 04BE090B
	s_waitcnt vmcnt(7)                                         // 00000000328C: BF8C0F77
	v_mul_f32_dpp v4, v24, v34 row_newbcast:0 row_mask:0xf bank_mask:0xf// 000000003290: 0A0844FA FF015018
	v_mfma_f32_16x16x32_fp8_fp8 v[8:11], a[40:41], a[0:1], 0   // 000000003298: D3F30008 1A020128
	v_mfma_f32_16x16x32_fp8_fp8 v[8:11], a[42:43], a[2:3], v[8:11]// 0000000032A0: D3F30008 1C22052A
	buffer_load_dwordx4 a[72:75], v41, s[84:87], 0 offen       // 0000000032A8: E05C1000 80954829
	v_mfma_f32_16x16x32_fp8_fp8 v[8:11], a[44:45], a[4:5], v[8:11]// 0000000032B0: D3F30008 1C22092C
	v_mfma_f32_16x16x32_fp8_fp8 v[8:11], a[46:47], a[6:7], v[8:11]// 0000000032B8: D3F30008 1C220D2E
	v_fma_f32 v48, v12, v6, v48                                // 0000000032C0: D1CB0030 04C20D0C
	v_fma_f32 v49, v13, v6, v49                                // 0000000032C8: D1CB0031 04C60D0D
	v_fma_f32 v50, v14, v6, v50                                // 0000000032D0: D1CB0032 04CA0D0E
	v_fma_f32 v51, v15, v6, v51                                // 0000000032D8: D1CB0033 04CE0D0F
	v_mul_f32_dpp v6, v24, v35 row_newbcast:0 row_mask:0xf bank_mask:0xf// 0000000032E0: 0A0C46FA FF015018
	v_mfma_f32_16x16x32_fp8_fp8 v[12:15], a[40:41], a[8:9], 0  // 0000000032E8: D3F3000C 1A021128
	v_mfma_f32_16x16x32_fp8_fp8 v[12:15], a[42:43], a[10:11], v[12:15]// 0000000032F0: D3F3000C 1C32152A
	buffer_load_dwordx4 a[76:79], v41, s[84:87], 0 offen offset:1024// 0000000032F8: E05C1400 80954C29
	v_mfma_f32_16x16x32_fp8_fp8 v[12:15], a[44:45], a[12:13], v[12:15]// 000000003300: D3F3000C 1C32192C
	v_mfma_f32_16x16x32_fp8_fp8 v[12:15], a[46:47], a[14:15], v[12:15]// 000000003308: D3F3000C 1C321D2E
	v_fma_f32 v52, v8, v4, v52                                 // 000000003310: D1CB0034 04D20908
	v_fma_f32 v53, v9, v4, v53                                 // 000000003318: D1CB0035 04D60909
	v_fma_f32 v54, v10, v4, v54                                // 000000003320: D1CB0036 04DA090A
	v_fma_f32 v55, v11, v4, v55                                // 000000003328: D1CB0037 04DE090B
	s_waitcnt vmcnt(7)                                         // 000000003330: BF8C0F77
	v_mul_f32_dpp v4, v24, v34 row_newbcast:1 row_mask:0xf bank_mask:0xf// 000000003334: 0A0844FA FF015118
	v_mfma_f32_16x16x32_fp8_fp8 v[8:11], a[48:49], a[0:1], 0   // 00000000333C: D3F30008 1A020130
	v_mfma_f32_16x16x32_fp8_fp8 v[8:11], a[50:51], a[2:3], v[8:11]// 000000003344: D3F30008 1C220532
	buffer_load_dwordx4 a[80:83], v42, s[84:87], 0 offen       // 00000000334C: E05C1000 8095502A
	v_mfma_f32_16x16x32_fp8_fp8 v[8:11], a[52:53], a[4:5], v[8:11]// 000000003354: D3F30008 1C220934
	v_mfma_f32_16x16x32_fp8_fp8 v[8:11], a[54:55], a[6:7], v[8:11]// 00000000335C: D3F30008 1C220D36
	v_fma_f32 v56, v12, v6, v56                                // 000000003364: D1CB0038 04E20D0C
	v_fma_f32 v57, v13, v6, v57                                // 00000000336C: D1CB0039 04E60D0D
	v_fma_f32 v58, v14, v6, v58                                // 000000003374: D1CB003A 04EA0D0E
	v_fma_f32 v59, v15, v6, v59                                // 00000000337C: D1CB003B 04EE0D0F
	v_mul_f32_dpp v6, v24, v35 row_newbcast:1 row_mask:0xf bank_mask:0xf// 000000003384: 0A0C46FA FF015118
	v_mfma_f32_16x16x32_fp8_fp8 v[12:15], a[48:49], a[8:9], 0  // 00000000338C: D3F3000C 1A021130
	v_mfma_f32_16x16x32_fp8_fp8 v[12:15], a[50:51], a[10:11], v[12:15]// 000000003394: D3F3000C 1C321532
	buffer_load_dwordx4 a[84:87], v42, s[84:87], 0 offen offset:1024// 00000000339C: E05C1400 8095542A
	v_mfma_f32_16x16x32_fp8_fp8 v[12:15], a[52:53], a[12:13], v[12:15]// 0000000033A4: D3F3000C 1C321934
	v_mfma_f32_16x16x32_fp8_fp8 v[12:15], a[54:55], a[14:15], v[12:15]// 0000000033AC: D3F3000C 1C321D36
	v_fma_f32 v60, v8, v4, v60                                 // 0000000033B4: D1CB003C 04F20908
	v_fma_f32 v61, v9, v4, v61                                 // 0000000033BC: D1CB003D 04F60909
	v_fma_f32 v62, v10, v4, v62                                // 0000000033C4: D1CB003E 04FA090A
	v_fma_f32 v63, v11, v4, v63                                // 0000000033CC: D1CB003F 04FE090B
	s_waitcnt vmcnt(7)                                         // 0000000033D4: BF8C0F77
	v_mul_f32_dpp v4, v24, v34 row_newbcast:1 row_mask:0xf bank_mask:0xf// 0000000033D8: 0A0844FA FF015118
	v_mfma_f32_16x16x32_fp8_fp8 v[8:11], a[56:57], a[0:1], 0   // 0000000033E0: D3F30008 1A020138
	v_mfma_f32_16x16x32_fp8_fp8 v[8:11], a[58:59], a[2:3], v[8:11]// 0000000033E8: D3F30008 1C22053A
	buffer_load_dwordx4 a[88:91], v43, s[84:87], 0 offen       // 0000000033F0: E05C1000 8095582B
	v_mfma_f32_16x16x32_fp8_fp8 v[8:11], a[60:61], a[4:5], v[8:11]// 0000000033F8: D3F30008 1C22093C
	v_mfma_f32_16x16x32_fp8_fp8 v[8:11], a[62:63], a[6:7], v[8:11]// 000000003400: D3F30008 1C220D3E
	v_fma_f32 v64, v12, v6, v64                                // 000000003408: D1CB0040 05020D0C
	v_fma_f32 v65, v13, v6, v65                                // 000000003410: D1CB0041 05060D0D
	v_fma_f32 v66, v14, v6, v66                                // 000000003418: D1CB0042 050A0D0E
	v_fma_f32 v67, v15, v6, v67                                // 000000003420: D1CB0043 050E0D0F
	v_mul_f32_dpp v6, v24, v35 row_newbcast:1 row_mask:0xf bank_mask:0xf// 000000003428: 0A0C46FA FF015118
	v_mfma_f32_16x16x32_fp8_fp8 v[12:15], a[56:57], a[8:9], 0  // 000000003430: D3F3000C 1A021138
	v_mfma_f32_16x16x32_fp8_fp8 v[12:15], a[58:59], a[10:11], v[12:15]// 000000003438: D3F3000C 1C32153A
	buffer_load_dwordx4 a[92:95], v43, s[84:87], 0 offen offset:1024// 000000003440: E05C1400 80955C2B
	buffer_load_dword v36, s[20:23], 0 offen lds               // 000000003448: E0511000 80050024
	s_add_u32 m0, 0x100, s48                                   // 000000003450: 807C30FF 00000100
	s_add_u32 s60, 0x80, s80                                   // 000000003458: 803C50FF 00000080
	s_cmp_lt_u32 s60, s81                                      // 000000003460: BF0A513C
	s_cselect_b32 s83, s83, 0                                  // 000000003464: 85538053
	s_cselect_b32 s4, s4, 0                                    // 000000003468: 85048004
	v_mfma_f32_16x16x32_fp8_fp8 v[12:15], a[60:61], a[12:13], v[12:15]// 00000000346C: D3F3000C 1C32193C
	s_add_u32 s32, s4, s32                                     // 000000003474: 80202004
	s_addc_u32 s33, 0, s33                                     // 000000003478: 82212180
	v_mfma_f32_16x16x32_fp8_fp8 v[12:15], a[62:63], a[14:15], v[12:15]// 00000000347C: D3F3000C 1C321D3E
	buffer_load_dword v37, s[20:23], 0 offen lds               // 000000003484: E0511000 80050025
	s_add_u32 m0, 0x200, s48                                   // 00000000348C: 807C30FF 00000200
	v_fma_f32 v68, v8, v4, v68                                 // 000000003494: D1CB0044 05120908
	v_fma_f32 v69, v9, v4, v69                                 // 00000000349C: D1CB0045 05160909
	v_fma_f32 v70, v10, v4, v70                                // 0000000034A4: D1CB0046 051A090A
	v_fma_f32 v71, v11, v4, v71                                // 0000000034AC: D1CB0047 051E090B
	v_fma_f32 v72, v12, v6, v72                                // 0000000034B4: D1CB0048 05220D0C
	v_fma_f32 v73, v13, v6, v73                                // 0000000034BC: D1CB0049 05260D0D
	v_fma_f32 v74, v14, v6, v74                                // 0000000034C4: D1CB004A 052A0D0E
	v_fma_f32 v75, v15, v6, v75                                // 0000000034CC: D1CB004B 052E0D0F
	buffer_load_dword v38, s[20:23], 0 offen lds               // 0000000034D4: E0511000 80050026
	s_add_u32 m0, 0x300, s48                                   // 0000000034DC: 807C30FF 00000300
	buffer_load_dword v39, s[20:23], 0 offen lds               // 0000000034E4: E0511000 80050027
	s_add_u32 m0, 0, s49                                       // 0000000034EC: 807C3180
	buffer_load_dword v30, v28, s[28:31], 0 offen              // 0000000034F0: E0501000 80071E1C
	buffer_load_dword v31, v29, s[28:31], 0 offen              // 0000000034F8: E0501000 80071F1D
	s_waitcnt vmcnt(6)                                         // 000000003500: BF8C0F76
	v_mul_f32_dpp v4, v27, v34 row_newbcast:0 row_mask:0xf bank_mask:0xf// 000000003504: 0A0844FA FF01501B
	v_mfma_f32_16x16x32_fp8_fp8 v[8:11], a[64:65], a[0:1], 0   // 00000000350C: D3F30008 1A020140
	buffer_load_dword v24, v22, s[32:35], 0 offen              // 000000003514: E0501000 80081816
	v_mfma_f32_16x16x32_fp8_fp8 v[8:11], a[66:67], a[2:3], v[8:11]// 00000000351C: D3F30008 1C220542
	buffer_load_dwordx4 a[32:35], v40, s[24:27], 0 offen       // 000000003524: E05C1000 80862028
	v_mfma_f32_16x16x32_fp8_fp8 v[8:11], a[68:69], a[4:5], v[8:11]// 00000000352C: D3F30008 1C220944
	v_mfma_f32_16x16x32_fp8_fp8 v[8:11], a[70:71], a[6:7], v[8:11]// 000000003534: D3F30008 1C220D46
	ds_read_b128 a[16:19], v2 offset:4224                      // 00000000353C: DBFE1080 10000002
	ds_read_b128 a[20:23], v2 offset:4288                      // 000000003544: DBFE10C0 14000002
	v_mfma_f32_16x16x32_fp8_fp8 v[12:15], a[72:73], a[0:1], 0  // 00000000354C: D3F3000C 1A020148
	v_mfma_f32_16x16x32_fp8_fp8 v[12:15], a[74:75], a[2:3], v[12:15]// 000000003554: D3F3000C 1C32054A
	buffer_load_dwordx4 a[36:39], v40, s[24:27], 0 offen offset:1024// 00000000355C: E05C1400 80862428
	v_mfma_f32_16x16x32_fp8_fp8 v[12:15], a[76:77], a[4:5], v[12:15]// 000000003564: D3F3000C 1C32094C
	v_mfma_f32_16x16x32_fp8_fp8 v[12:15], a[78:79], a[6:7], v[12:15]// 00000000356C: D3F3000C 1C320D4E
	ds_read_b128 a[24:27], v2 offset:4736                      // 000000003574: DBFE1280 18000002
	ds_read_b128 a[28:31], v2 offset:4800                      // 00000000357C: DBFE12C0 1C000002
	v_fma_f32 v76, v8, v4, v76                                 // 000000003584: D1CB004C 05320908
	v_fma_f32 v77, v9, v4, v77                                 // 00000000358C: D1CB004D 05360909
	v_fma_f32 v78, v10, v4, v78                                // 000000003594: D1CB004E 053A090A
	v_fma_f32 v79, v11, v4, v79                                // 00000000359C: D1CB004F 053E090B
	v_mul_f32_dpp v6, v27, v34 row_newbcast:1 row_mask:0xf bank_mask:0xf// 0000000035A4: 0A0C44FA FF01511B
	v_mfma_f32_16x16x32_fp8_fp8 v[8:11], a[80:81], a[0:1], 0   // 0000000035AC: D3F30008 1A020150
	v_mfma_f32_16x16x32_fp8_fp8 v[8:11], a[82:83], a[2:3], v[8:11]// 0000000035B4: D3F30008 1C220552
	buffer_load_dwordx4 a[40:43], v41, s[24:27], 0 offen       // 0000000035BC: E05C1000 80862829
	v_mfma_f32_16x16x32_fp8_fp8 v[8:11], a[84:85], a[4:5], v[8:11]// 0000000035C4: D3F30008 1C220954
	v_mfma_f32_16x16x32_fp8_fp8 v[8:11], a[86:87], a[6:7], v[8:11]// 0000000035CC: D3F30008 1C220D56
	v_fma_f32 v84, v12, v4, v84                                // 0000000035D4: D1CB0054 0552090C
	v_fma_f32 v85, v13, v4, v85                                // 0000000035DC: D1CB0055 0556090D
	v_fma_f32 v86, v14, v4, v86                                // 0000000035E4: D1CB0056 055A090E
	v_fma_f32 v87, v15, v4, v87                                // 0000000035EC: D1CB0057 055E090F
	v_mfma_f32_16x16x32_fp8_fp8 v[12:15], a[88:89], a[0:1], 0  // 0000000035F4: D3F3000C 1A020158
	v_mfma_f32_16x16x32_fp8_fp8 v[12:15], a[90:91], a[2:3], v[12:15]// 0000000035FC: D3F3000C 1C32055A
	buffer_load_dwordx4 a[44:47], v41, s[24:27], 0 offen offset:1024// 000000003604: E05C1400 80862C29
	v_mfma_f32_16x16x32_fp8_fp8 v[12:15], a[92:93], a[4:5], v[12:15]// 00000000360C: D3F3000C 1C32095C
	v_mfma_f32_16x16x32_fp8_fp8 v[12:15], a[94:95], a[6:7], v[12:15]// 000000003614: D3F3000C 1C320D5E
	v_fma_f32 v92, v8, v6, v92                                 // 00000000361C: D1CB005C 05720D08
	v_fma_f32 v93, v9, v6, v93                                 // 000000003624: D1CB005D 05760D09
	v_fma_f32 v94, v10, v6, v94                                // 00000000362C: D1CB005E 057A0D0A
	v_fma_f32 v95, v11, v6, v95                                // 000000003634: D1CB005F 057E0D0B
	v_mul_f32_dpp v4, v27, v35 row_newbcast:0 row_mask:0xf bank_mask:0xf// 00000000363C: 0A0846FA FF01501B
	v_mfma_f32_16x16x32_fp8_fp8 v[8:11], a[64:65], a[8:9], 0   // 000000003644: D3F30008 1A021140
	v_mfma_f32_16x16x32_fp8_fp8 v[8:11], a[66:67], a[10:11], v[8:11]// 00000000364C: D3F30008 1C221542
	buffer_load_dwordx4 a[48:51], v42, s[24:27], 0 offen       // 000000003654: E05C1000 8086302A
	v_mfma_f32_16x16x32_fp8_fp8 v[8:11], a[68:69], a[12:13], v[8:11]// 00000000365C: D3F30008 1C221944
	v_mfma_f32_16x16x32_fp8_fp8 v[8:11], a[70:71], a[14:15], v[8:11]// 000000003664: D3F30008 1C221D46
	v_fma_f32 v100, v12, v6, v100                              // 00000000366C: D1CB0064 05920D0C
	v_fma_f32 v101, v13, v6, v101                              // 000000003674: D1CB0065 05960D0D
	v_fma_f32 v102, v14, v6, v102                              // 00000000367C: D1CB0066 059A0D0E
	v_fma_f32 v103, v15, v6, v103                              // 000000003684: D1CB0067 059E0D0F
	v_mfma_f32_16x16x32_fp8_fp8 v[12:15], a[72:73], a[8:9], 0  // 00000000368C: D3F3000C 1A021148
	v_mfma_f32_16x16x32_fp8_fp8 v[12:15], a[74:75], a[10:11], v[12:15]// 000000003694: D3F3000C 1C32154A
	buffer_load_dwordx4 a[52:55], v42, s[24:27], 0 offen offset:1024// 00000000369C: E05C1400 8086342A
	v_mfma_f32_16x16x32_fp8_fp8 v[12:15], a[76:77], a[12:13], v[12:15]// 0000000036A4: D3F3000C 1C32194C
	v_mfma_f32_16x16x32_fp8_fp8 v[12:15], a[78:79], a[14:15], v[12:15]// 0000000036AC: D3F3000C 1C321D4E
	v_fma_f32 v80, v8, v4, v80                                 // 0000000036B4: D1CB0050 05420908
	v_fma_f32 v81, v9, v4, v81                                 // 0000000036BC: D1CB0051 05460909
	v_fma_f32 v82, v10, v4, v82                                // 0000000036C4: D1CB0052 054A090A
	v_fma_f32 v83, v11, v4, v83                                // 0000000036CC: D1CB0053 054E090B
	v_mul_f32_dpp v6, v27, v35 row_newbcast:1 row_mask:0xf bank_mask:0xf// 0000000036D4: 0A0C46FA FF01511B
	v_mfma_f32_16x16x32_fp8_fp8 v[8:11], a[80:81], a[8:9], 0   // 0000000036DC: D3F30008 1A021150
	v_mfma_f32_16x16x32_fp8_fp8 v[8:11], a[82:83], a[10:11], v[8:11]// 0000000036E4: D3F30008 1C221552
	buffer_load_dwordx4 a[56:59], v43, s[24:27], 0 offen       // 0000000036EC: E05C1000 8086382B
	v_mfma_f32_16x16x32_fp8_fp8 v[8:11], a[84:85], a[12:13], v[8:11]// 0000000036F4: D3F30008 1C221954
	s_add_u32 s60, 0x180, s80                                  // 0000000036FC: 803C50FF 00000180
	s_cmp_lt_u32 s60, s81                                      // 000000003704: BF0A513C
	s_cselect_b32 s57, s57, 0                                  // 000000003708: 85398039
	s_cselect_b32 s3, s3, 0                                    // 00000000370C: 85038003
	v_mfma_f32_16x16x32_fp8_fp8 v[8:11], a[86:87], a[14:15], v[8:11]// 000000003710: D3F30008 1C221D56
	s_add_u32 s60, 0x100, s80                                  // 000000003718: 803C50FF 00000100
	s_cmp_lt_u32 s60, s81                                      // 000000003720: BF0A513C
	s_cselect_b32 s58, s58, 0                                  // 000000003724: 853A803A
	v_fma_f32 v88, v12, v4, v88                                // 000000003728: D1CB0058 0562090C
	v_fma_f32 v89, v13, v4, v89                                // 000000003730: D1CB0059 0566090D
	v_fma_f32 v90, v14, v4, v90                                // 000000003738: D1CB005A 056A090E
	v_fma_f32 v91, v15, v4, v91                                // 000000003740: D1CB005B 056E090F
	v_mfma_f32_16x16x32_fp8_fp8 v[12:15], a[88:89], a[8:9], 0  // 000000003748: D3F3000C 1A021158
	v_mfma_f32_16x16x32_fp8_fp8 v[12:15], a[90:91], a[10:11], v[12:15]// 000000003750: D3F3000C 1C32155A
	buffer_load_dwordx4 a[60:63], v43, s[24:27], 0 offen offset:1024// 000000003758: E05C1400 80863C2B
	s_add_u32 s20, s57, s20                                    // 000000003760: 80141439
	s_addc_u32 s21, 0, s21                                     // 000000003764: 82151580
	s_add_u32 s28, s3, s28                                     // 000000003768: 801C1C03
	s_addc_u32 s29, 0, s29                                     // 00000000376C: 821D1D80
	v_mfma_f32_16x16x32_fp8_fp8 v[12:15], a[92:93], a[12:13], v[12:15]// 000000003770: D3F3000C 1C32195C
	s_add_u32 s84, s83, s84                                    // 000000003778: 80545453
	s_addc_u32 s85, 0, s85                                     // 00000000377C: 82555580
	v_mfma_f32_16x16x32_fp8_fp8 v[12:15], a[94:95], a[14:15], v[12:15]// 000000003780: D3F3000C 1C321D5E
	v_fma_f32 v96, v8, v6, v96                                 // 000000003788: D1CB0060 05820D08
	v_fma_f32 v97, v9, v6, v97                                 // 000000003790: D1CB0061 05860D09
	v_fma_f32 v98, v10, v6, v98                                // 000000003798: D1CB0062 058A0D0A
	v_fma_f32 v99, v11, v6, v99                                // 0000000037A0: D1CB0063 058E0D0B
	v_fma_f32 v104, v12, v6, v104                              // 0000000037A8: D1CB0068 05A20D0C
	v_fma_f32 v105, v13, v6, v105                              // 0000000037B0: D1CB0069 05A60D0D
	v_fma_f32 v106, v14, v6, v106                              // 0000000037B8: D1CB006A 05AA0D0E
	v_fma_f32 v107, v15, v6, v107                              // 0000000037C0: D1CB006B 05AE0D0F
	s_add_u32 s24, s58, s24                                    // 0000000037C8: 8018183A
	s_addc_u32 s25, 0, s25                                     // 0000000037CC: 82191980
	s_addk_i32 s80, 0x80                                       // 0000000037D0: B7500080
	s_cmp_lt_i32 s80, s81                                      // 0000000037D4: BF045150
	s_cbranch_scc0 label_04F2                                  // 0000000037D8: BF84017B
	s_waitcnt vmcnt(6) lgkmcnt(0)                              // 0000000037DC: BF8C0076
	s_barrier                                                  // 0000000037E0: BF8A0000
	v_mov_b32_e32 v34, v32                                     // 0000000037E4: 7E440320
	v_mov_b32_e32 v35, v33                                     // 0000000037E8: 7E460321
	v_mul_f32_dpp v4, v24, v34 row_newbcast:0 row_mask:0xf bank_mask:0xf// 0000000037EC: 0A0844FA FF015018
	v_mfma_f32_16x16x32_fp8_fp8 v[8:11], a[32:33], a[16:17], 0 // 0000000037F4: D3F30008 1A022120
	buffer_load_dword v27, v23, s[32:35], 0 offen              // 0000000037FC: E0501000 80081B17
	v_mfma_f32_16x16x32_fp8_fp8 v[8:11], a[34:35], a[18:19], v[8:11]// 000000003804: D3F30008 1C222522
	buffer_load_dwordx4 a[64:67], v40, s[84:87], 0 offen       // 00000000380C: E05C1000 80954028
	v_mfma_f32_16x16x32_fp8_fp8 v[8:11], a[36:37], a[20:21], v[8:11]// 000000003814: D3F30008 1C222924
	v_mfma_f32_16x16x32_fp8_fp8 v[8:11], a[38:39], a[22:23], v[8:11]// 00000000381C: D3F30008 1C222D26
	v_mul_f32_dpp v6, v24, v35 row_newbcast:0 row_mask:0xf bank_mask:0xf// 000000003824: 0A0C46FA FF015018
	v_mfma_f32_16x16x32_fp8_fp8 v[12:15], a[32:33], a[24:25], 0// 00000000382C: D3F3000C 1A023120
	v_mfma_f32_16x16x32_fp8_fp8 v[12:15], a[34:35], a[26:27], v[12:15]// 000000003834: D3F3000C 1C323522
	buffer_load_dwordx4 a[68:71], v40, s[84:87], 0 offen offset:1024// 00000000383C: E05C1400 80954428
	v_mfma_f32_16x16x32_fp8_fp8 v[12:15], a[36:37], a[28:29], v[12:15]// 000000003844: D3F3000C 1C323924
	v_mfma_f32_16x16x32_fp8_fp8 v[12:15], a[38:39], a[30:31], v[12:15]// 00000000384C: D3F3000C 1C323D26
	v_fma_f32 v44, v8, v4, v44                                 // 000000003854: D1CB002C 04B20908
	v_fma_f32 v45, v9, v4, v45                                 // 00000000385C: D1CB002D 04B60909
	v_fma_f32 v46, v10, v4, v46                                // 000000003864: D1CB002E 04BA090A
	v_fma_f32 v47, v11, v4, v47                                // 00000000386C: D1CB002F 04BE090B
	s_waitcnt vmcnt(7)                                         // 000000003874: BF8C0F77
	v_mul_f32_dpp v4, v24, v34 row_newbcast:0 row_mask:0xf bank_mask:0xf// 000000003878: 0A0844FA FF015018
	v_mfma_f32_16x16x32_fp8_fp8 v[8:11], a[40:41], a[16:17], 0 // 000000003880: D3F30008 1A022128
	v_mfma_f32_16x16x32_fp8_fp8 v[8:11], a[42:43], a[18:19], v[8:11]// 000000003888: D3F30008 1C22252A
	buffer_load_dwordx4 a[72:75], v41, s[84:87], 0 offen       // 000000003890: E05C1000 80954829
	v_mfma_f32_16x16x32_fp8_fp8 v[8:11], a[44:45], a[20:21], v[8:11]// 000000003898: D3F30008 1C22292C
	v_mfma_f32_16x16x32_fp8_fp8 v[8:11], a[46:47], a[22:23], v[8:11]// 0000000038A0: D3F30008 1C222D2E
	v_fma_f32 v48, v12, v6, v48                                // 0000000038A8: D1CB0030 04C20D0C
	v_fma_f32 v49, v13, v6, v49                                // 0000000038B0: D1CB0031 04C60D0D
	v_fma_f32 v50, v14, v6, v50                                // 0000000038B8: D1CB0032 04CA0D0E
	v_fma_f32 v51, v15, v6, v51                                // 0000000038C0: D1CB0033 04CE0D0F
	v_mul_f32_dpp v6, v24, v35 row_newbcast:0 row_mask:0xf bank_mask:0xf// 0000000038C8: 0A0C46FA FF015018
	v_mfma_f32_16x16x32_fp8_fp8 v[12:15], a[40:41], a[24:25], 0// 0000000038D0: D3F3000C 1A023128
	v_mfma_f32_16x16x32_fp8_fp8 v[12:15], a[42:43], a[26:27], v[12:15]// 0000000038D8: D3F3000C 1C32352A
	buffer_load_dwordx4 a[76:79], v41, s[84:87], 0 offen offset:1024// 0000000038E0: E05C1400 80954C29
	v_mfma_f32_16x16x32_fp8_fp8 v[12:15], a[44:45], a[28:29], v[12:15]// 0000000038E8: D3F3000C 1C32392C
	v_mfma_f32_16x16x32_fp8_fp8 v[12:15], a[46:47], a[30:31], v[12:15]// 0000000038F0: D3F3000C 1C323D2E
	v_fma_f32 v52, v8, v4, v52                                 // 0000000038F8: D1CB0034 04D20908
	v_fma_f32 v53, v9, v4, v53                                 // 000000003900: D1CB0035 04D60909
	v_fma_f32 v54, v10, v4, v54                                // 000000003908: D1CB0036 04DA090A
	v_fma_f32 v55, v11, v4, v55                                // 000000003910: D1CB0037 04DE090B
	s_waitcnt vmcnt(7)                                         // 000000003918: BF8C0F77
	v_mul_f32_dpp v4, v24, v34 row_newbcast:1 row_mask:0xf bank_mask:0xf// 00000000391C: 0A0844FA FF015118
	v_mfma_f32_16x16x32_fp8_fp8 v[8:11], a[48:49], a[16:17], 0 // 000000003924: D3F30008 1A022130
	v_mfma_f32_16x16x32_fp8_fp8 v[8:11], a[50:51], a[18:19], v[8:11]// 00000000392C: D3F30008 1C222532
	buffer_load_dwordx4 a[80:83], v42, s[84:87], 0 offen       // 000000003934: E05C1000 8095502A
	v_mfma_f32_16x16x32_fp8_fp8 v[8:11], a[52:53], a[20:21], v[8:11]// 00000000393C: D3F30008 1C222934
	v_mfma_f32_16x16x32_fp8_fp8 v[8:11], a[54:55], a[22:23], v[8:11]// 000000003944: D3F30008 1C222D36
	v_fma_f32 v56, v12, v6, v56                                // 00000000394C: D1CB0038 04E20D0C
	v_fma_f32 v57, v13, v6, v57                                // 000000003954: D1CB0039 04E60D0D
	v_fma_f32 v58, v14, v6, v58                                // 00000000395C: D1CB003A 04EA0D0E
	v_fma_f32 v59, v15, v6, v59                                // 000000003964: D1CB003B 04EE0D0F
	v_mul_f32_dpp v6, v24, v35 row_newbcast:1 row_mask:0xf bank_mask:0xf// 00000000396C: 0A0C46FA FF015118
	v_mfma_f32_16x16x32_fp8_fp8 v[12:15], a[48:49], a[24:25], 0// 000000003974: D3F3000C 1A023130
	v_mfma_f32_16x16x32_fp8_fp8 v[12:15], a[50:51], a[26:27], v[12:15]// 00000000397C: D3F3000C 1C323532
	buffer_load_dwordx4 a[84:87], v42, s[84:87], 0 offen offset:1024// 000000003984: E05C1400 8095542A
	v_mfma_f32_16x16x32_fp8_fp8 v[12:15], a[52:53], a[28:29], v[12:15]// 00000000398C: D3F3000C 1C323934
	v_mfma_f32_16x16x32_fp8_fp8 v[12:15], a[54:55], a[30:31], v[12:15]// 000000003994: D3F3000C 1C323D36
	v_fma_f32 v60, v8, v4, v60                                 // 00000000399C: D1CB003C 04F20908
	v_fma_f32 v61, v9, v4, v61                                 // 0000000039A4: D1CB003D 04F60909
	v_fma_f32 v62, v10, v4, v62                                // 0000000039AC: D1CB003E 04FA090A
	v_fma_f32 v63, v11, v4, v63                                // 0000000039B4: D1CB003F 04FE090B
	s_waitcnt vmcnt(7)                                         // 0000000039BC: BF8C0F77
	v_mul_f32_dpp v4, v24, v34 row_newbcast:1 row_mask:0xf bank_mask:0xf// 0000000039C0: 0A0844FA FF015118
	v_mfma_f32_16x16x32_fp8_fp8 v[8:11], a[56:57], a[16:17], 0 // 0000000039C8: D3F30008 1A022138
	v_mfma_f32_16x16x32_fp8_fp8 v[8:11], a[58:59], a[18:19], v[8:11]// 0000000039D0: D3F30008 1C22253A
	buffer_load_dwordx4 a[88:91], v43, s[84:87], 0 offen       // 0000000039D8: E05C1000 8095582B
	v_mfma_f32_16x16x32_fp8_fp8 v[8:11], a[60:61], a[20:21], v[8:11]// 0000000039E0: D3F30008 1C22293C
	v_mfma_f32_16x16x32_fp8_fp8 v[8:11], a[62:63], a[22:23], v[8:11]// 0000000039E8: D3F30008 1C222D3E
	v_fma_f32 v64, v12, v6, v64                                // 0000000039F0: D1CB0040 05020D0C
	v_fma_f32 v65, v13, v6, v65                                // 0000000039F8: D1CB0041 05060D0D
	v_fma_f32 v66, v14, v6, v66                                // 000000003A00: D1CB0042 050A0D0E
	v_fma_f32 v67, v15, v6, v67                                // 000000003A08: D1CB0043 050E0D0F
	v_mul_f32_dpp v6, v24, v35 row_newbcast:1 row_mask:0xf bank_mask:0xf// 000000003A10: 0A0C46FA FF015118
	v_mfma_f32_16x16x32_fp8_fp8 v[12:15], a[56:57], a[24:25], 0// 000000003A18: D3F3000C 1A023138
	v_mfma_f32_16x16x32_fp8_fp8 v[12:15], a[58:59], a[26:27], v[12:15]// 000000003A20: D3F3000C 1C32353A
	buffer_load_dwordx4 a[92:95], v43, s[84:87], 0 offen offset:1024// 000000003A28: E05C1400 80955C2B
	buffer_load_dword v36, s[20:23], 0 offen lds               // 000000003A30: E0511000 80050024
	s_add_u32 m0, 0x100, s49                                   // 000000003A38: 807C31FF 00000100
	s_add_u32 s60, 0x80, s80                                   // 000000003A40: 803C50FF 00000080
	s_cmp_lt_u32 s60, s81                                      // 000000003A48: BF0A513C
	s_cselect_b32 s83, s83, 0                                  // 000000003A4C: 85538053
	s_cselect_b32 s4, s4, 0                                    // 000000003A50: 85048004
	v_mfma_f32_16x16x32_fp8_fp8 v[12:15], a[60:61], a[28:29], v[12:15]// 000000003A54: D3F3000C 1C32393C
	s_add_u32 s32, s4, s32                                     // 000000003A5C: 80202004
	s_addc_u32 s33, 0, s33                                     // 000000003A60: 82212180
	v_mfma_f32_16x16x32_fp8_fp8 v[12:15], a[62:63], a[30:31], v[12:15]// 000000003A64: D3F3000C 1C323D3E
	buffer_load_dword v37, s[20:23], 0 offen lds               // 000000003A6C: E0511000 80050025
	s_add_u32 m0, 0x200, s49                                   // 000000003A74: 807C31FF 00000200
	v_fma_f32 v68, v8, v4, v68                                 // 000000003A7C: D1CB0044 05120908
	v_fma_f32 v69, v9, v4, v69                                 // 000000003A84: D1CB0045 05160909
	v_fma_f32 v70, v10, v4, v70                                // 000000003A8C: D1CB0046 051A090A
	v_fma_f32 v71, v11, v4, v71                                // 000000003A94: D1CB0047 051E090B
	v_fma_f32 v72, v12, v6, v72                                // 000000003A9C: D1CB0048 05220D0C
	v_fma_f32 v73, v13, v6, v73                                // 000000003AA4: D1CB0049 05260D0D
	v_fma_f32 v74, v14, v6, v74                                // 000000003AAC: D1CB004A 052A0D0E
	v_fma_f32 v75, v15, v6, v75                                // 000000003AB4: D1CB004B 052E0D0F
	buffer_load_dword v38, s[20:23], 0 offen lds               // 000000003ABC: E0511000 80050026
	s_add_u32 m0, 0x300, s49                                   // 000000003AC4: 807C31FF 00000300
	buffer_load_dword v39, s[20:23], 0 offen lds               // 000000003ACC: E0511000 80050027
	s_add_u32 m0, 0, s48                                       // 000000003AD4: 807C3080
	buffer_load_dword v32, v28, s[28:31], 0 offen              // 000000003AD8: E0501000 8007201C
	buffer_load_dword v33, v29, s[28:31], 0 offen              // 000000003AE0: E0501000 8007211D
	s_waitcnt vmcnt(6)                                         // 000000003AE8: BF8C0F76
	v_mul_f32_dpp v4, v27, v34 row_newbcast:0 row_mask:0xf bank_mask:0xf// 000000003AEC: 0A0844FA FF01501B
	v_mfma_f32_16x16x32_fp8_fp8 v[8:11], a[64:65], a[16:17], 0 // 000000003AF4: D3F30008 1A022140
	buffer_load_dword v24, v22, s[32:35], 0 offen              // 000000003AFC: E0501000 80081816
	v_mfma_f32_16x16x32_fp8_fp8 v[8:11], a[66:67], a[18:19], v[8:11]// 000000003B04: D3F30008 1C222542
	buffer_load_dwordx4 a[32:35], v40, s[24:27], 0 offen       // 000000003B0C: E05C1000 80862028
	v_mfma_f32_16x16x32_fp8_fp8 v[8:11], a[68:69], a[20:21], v[8:11]// 000000003B14: D3F30008 1C222944
	v_mfma_f32_16x16x32_fp8_fp8 v[8:11], a[70:71], a[22:23], v[8:11]// 000000003B1C: D3F30008 1C222D46
	ds_read_b128 a[0:3], v2                                    // 000000003B24: DBFE0000 00000002
	ds_read_b128 a[4:7], v2 offset:64                          // 000000003B2C: DBFE0040 04000002
	v_mfma_f32_16x16x32_fp8_fp8 v[12:15], a[72:73], a[16:17], 0// 000000003B34: D3F3000C 1A022148
	v_mfma_f32_16x16x32_fp8_fp8 v[12:15], a[74:75], a[18:19], v[12:15]// 000000003B3C: D3F3000C 1C32254A
	buffer_load_dwordx4 a[36:39], v40, s[24:27], 0 offen offset:1024// 000000003B44: E05C1400 80862428
	v_mfma_f32_16x16x32_fp8_fp8 v[12:15], a[76:77], a[20:21], v[12:15]// 000000003B4C: D3F3000C 1C32294C
	v_mfma_f32_16x16x32_fp8_fp8 v[12:15], a[78:79], a[22:23], v[12:15]// 000000003B54: D3F3000C 1C322D4E
	ds_read_b128 a[8:11], v2 offset:512                        // 000000003B5C: DBFE0200 08000002
	ds_read_b128 a[12:15], v2 offset:576                       // 000000003B64: DBFE0240 0C000002
	v_fma_f32 v76, v8, v4, v76                                 // 000000003B6C: D1CB004C 05320908
	v_fma_f32 v77, v9, v4, v77                                 // 000000003B74: D1CB004D 05360909
	v_fma_f32 v78, v10, v4, v78                                // 000000003B7C: D1CB004E 053A090A
	v_fma_f32 v79, v11, v4, v79                                // 000000003B84: D1CB004F 053E090B
	v_mul_f32_dpp v6, v27, v34 row_newbcast:1 row_mask:0xf bank_mask:0xf// 000000003B8C: 0A0C44FA FF01511B
	v_mfma_f32_16x16x32_fp8_fp8 v[8:11], a[80:81], a[16:17], 0 // 000000003B94: D3F30008 1A022150
	v_mfma_f32_16x16x32_fp8_fp8 v[8:11], a[82:83], a[18:19], v[8:11]// 000000003B9C: D3F30008 1C222552
	buffer_load_dwordx4 a[40:43], v41, s[24:27], 0 offen       // 000000003BA4: E05C1000 80862829
	v_mfma_f32_16x16x32_fp8_fp8 v[8:11], a[84:85], a[20:21], v[8:11]// 000000003BAC: D3F30008 1C222954
	v_mfma_f32_16x16x32_fp8_fp8 v[8:11], a[86:87], a[22:23], v[8:11]// 000000003BB4: D3F30008 1C222D56
	v_fma_f32 v84, v12, v4, v84                                // 000000003BBC: D1CB0054 0552090C
	v_fma_f32 v85, v13, v4, v85                                // 000000003BC4: D1CB0055 0556090D
	v_fma_f32 v86, v14, v4, v86                                // 000000003BCC: D1CB0056 055A090E
	v_fma_f32 v87, v15, v4, v87                                // 000000003BD4: D1CB0057 055E090F
	v_mfma_f32_16x16x32_fp8_fp8 v[12:15], a[88:89], a[16:17], 0// 000000003BDC: D3F3000C 1A022158
	v_mfma_f32_16x16x32_fp8_fp8 v[12:15], a[90:91], a[18:19], v[12:15]// 000000003BE4: D3F3000C 1C32255A
	buffer_load_dwordx4 a[44:47], v41, s[24:27], 0 offen offset:1024// 000000003BEC: E05C1400 80862C29
	v_mfma_f32_16x16x32_fp8_fp8 v[12:15], a[92:93], a[20:21], v[12:15]// 000000003BF4: D3F3000C 1C32295C
	v_mfma_f32_16x16x32_fp8_fp8 v[12:15], a[94:95], a[22:23], v[12:15]// 000000003BFC: D3F3000C 1C322D5E
	v_fma_f32 v92, v8, v6, v92                                 // 000000003C04: D1CB005C 05720D08
	v_fma_f32 v93, v9, v6, v93                                 // 000000003C0C: D1CB005D 05760D09
	v_fma_f32 v94, v10, v6, v94                                // 000000003C14: D1CB005E 057A0D0A
	v_fma_f32 v95, v11, v6, v95                                // 000000003C1C: D1CB005F 057E0D0B
	v_mul_f32_dpp v4, v27, v35 row_newbcast:0 row_mask:0xf bank_mask:0xf// 000000003C24: 0A0846FA FF01501B
	v_mfma_f32_16x16x32_fp8_fp8 v[8:11], a[64:65], a[24:25], 0 // 000000003C2C: D3F30008 1A023140
	v_mfma_f32_16x16x32_fp8_fp8 v[8:11], a[66:67], a[26:27], v[8:11]// 000000003C34: D3F30008 1C223542
	buffer_load_dwordx4 a[48:51], v42, s[24:27], 0 offen       // 000000003C3C: E05C1000 8086302A
	v_mfma_f32_16x16x32_fp8_fp8 v[8:11], a[68:69], a[28:29], v[8:11]// 000000003C44: D3F30008 1C223944
	v_mfma_f32_16x16x32_fp8_fp8 v[8:11], a[70:71], a[30:31], v[8:11]// 000000003C4C: D3F30008 1C223D46
	v_fma_f32 v100, v12, v6, v100                              // 000000003C54: D1CB0064 05920D0C
	v_fma_f32 v101, v13, v6, v101                              // 000000003C5C: D1CB0065 05960D0D
	v_fma_f32 v102, v14, v6, v102                              // 000000003C64: D1CB0066 059A0D0E
	v_fma_f32 v103, v15, v6, v103                              // 000000003C6C: D1CB0067 059E0D0F
	v_mfma_f32_16x16x32_fp8_fp8 v[12:15], a[72:73], a[24:25], 0// 000000003C74: D3F3000C 1A023148
	v_mfma_f32_16x16x32_fp8_fp8 v[12:15], a[74:75], a[26:27], v[12:15]// 000000003C7C: D3F3000C 1C32354A
	buffer_load_dwordx4 a[52:55], v42, s[24:27], 0 offen offset:1024// 000000003C84: E05C1400 8086342A
	v_mfma_f32_16x16x32_fp8_fp8 v[12:15], a[76:77], a[28:29], v[12:15]// 000000003C8C: D3F3000C 1C32394C
	v_mfma_f32_16x16x32_fp8_fp8 v[12:15], a[78:79], a[30:31], v[12:15]// 000000003C94: D3F3000C 1C323D4E
	v_fma_f32 v80, v8, v4, v80                                 // 000000003C9C: D1CB0050 05420908
	v_fma_f32 v81, v9, v4, v81                                 // 000000003CA4: D1CB0051 05460909
	v_fma_f32 v82, v10, v4, v82                                // 000000003CAC: D1CB0052 054A090A
	v_fma_f32 v83, v11, v4, v83                                // 000000003CB4: D1CB0053 054E090B
	v_mul_f32_dpp v6, v27, v35 row_newbcast:1 row_mask:0xf bank_mask:0xf// 000000003CBC: 0A0C46FA FF01511B
	v_mfma_f32_16x16x32_fp8_fp8 v[8:11], a[80:81], a[24:25], 0 // 000000003CC4: D3F30008 1A023150
	v_mfma_f32_16x16x32_fp8_fp8 v[8:11], a[82:83], a[26:27], v[8:11]// 000000003CCC: D3F30008 1C223552
	buffer_load_dwordx4 a[56:59], v43, s[24:27], 0 offen       // 000000003CD4: E05C1000 8086382B
	v_mfma_f32_16x16x32_fp8_fp8 v[8:11], a[84:85], a[28:29], v[8:11]// 000000003CDC: D3F30008 1C223954
	s_add_u32 s60, 0x180, s80                                  // 000000003CE4: 803C50FF 00000180
	s_cmp_lt_u32 s60, s81                                      // 000000003CEC: BF0A513C
	s_cselect_b32 s57, s57, 0                                  // 000000003CF0: 85398039
	s_cselect_b32 s3, s3, 0                                    // 000000003CF4: 85038003
	v_mfma_f32_16x16x32_fp8_fp8 v[8:11], a[86:87], a[30:31], v[8:11]// 000000003CF8: D3F30008 1C223D56
	s_add_u32 s60, 0x100, s80                                  // 000000003D00: 803C50FF 00000100
	s_cmp_lt_u32 s60, s81                                      // 000000003D08: BF0A513C
	s_cselect_b32 s58, s58, 0                                  // 000000003D0C: 853A803A
	v_fma_f32 v88, v12, v4, v88                                // 000000003D10: D1CB0058 0562090C
	v_fma_f32 v89, v13, v4, v89                                // 000000003D18: D1CB0059 0566090D
	v_fma_f32 v90, v14, v4, v90                                // 000000003D20: D1CB005A 056A090E
	v_fma_f32 v91, v15, v4, v91                                // 000000003D28: D1CB005B 056E090F
	v_mfma_f32_16x16x32_fp8_fp8 v[12:15], a[88:89], a[24:25], 0// 000000003D30: D3F3000C 1A023158
	v_mfma_f32_16x16x32_fp8_fp8 v[12:15], a[90:91], a[26:27], v[12:15]// 000000003D38: D3F3000C 1C32355A
	buffer_load_dwordx4 a[60:63], v43, s[24:27], 0 offen offset:1024// 000000003D40: E05C1400 80863C2B
	s_add_u32 s20, s57, s20                                    // 000000003D48: 80141439
	s_addc_u32 s21, 0, s21                                     // 000000003D4C: 82151580
	s_add_u32 s28, s3, s28                                     // 000000003D50: 801C1C03
	s_addc_u32 s29, 0, s29                                     // 000000003D54: 821D1D80
	v_mfma_f32_16x16x32_fp8_fp8 v[12:15], a[92:93], a[28:29], v[12:15]// 000000003D58: D3F3000C 1C32395C
	s_add_u32 s84, s83, s84                                    // 000000003D60: 80545453
	s_addc_u32 s85, 0, s85                                     // 000000003D64: 82555580
	v_mfma_f32_16x16x32_fp8_fp8 v[12:15], a[94:95], a[30:31], v[12:15]// 000000003D68: D3F3000C 1C323D5E
	v_fma_f32 v96, v8, v6, v96                                 // 000000003D70: D1CB0060 05820D08
	v_fma_f32 v97, v9, v6, v97                                 // 000000003D78: D1CB0061 05860D09
	v_fma_f32 v98, v10, v6, v98                                // 000000003D80: D1CB0062 058A0D0A
	v_fma_f32 v99, v11, v6, v99                                // 000000003D88: D1CB0063 058E0D0B
	v_fma_f32 v104, v12, v6, v104                              // 000000003D90: D1CB0068 05A20D0C
	v_fma_f32 v105, v13, v6, v105                              // 000000003D98: D1CB0069 05A60D0D
	v_fma_f32 v106, v14, v6, v106                              // 000000003DA0: D1CB006A 05AA0D0E
	v_fma_f32 v107, v15, v6, v107                              // 000000003DA8: D1CB006B 05AE0D0F
	s_add_u32 s24, s58, s24                                    // 000000003DB0: 8018183A
	s_addc_u32 s25, 0, s25                                     // 000000003DB4: 82191980
	s_addk_i32 s80, 0x80                                       // 000000003DB8: B7500080
	s_cmp_lt_i32 s80, s81                                      // 000000003DBC: BF045150
	s_cbranch_scc0 label_04F2                                  // 000000003DC0: BF840001
	s_branch label_01FD                                        // 000000003DC4: BF82FD0B

0000000000003dc8 <label_04F2>:
	s_cmp_eq_u32 s88, 0                                        // 000000003DC8: BF068058
	s_cbranch_scc0 label_09C3                                  // 000000003DCC: BF8404CF
	s_cmp_eq_u32 s89, 0                                        // 000000003DD0: BF068059
	s_cbranch_scc1 label_063B                                  // 000000003DD4: BF850145
	v_mov_b32_e32 v8, v1                                       // 000000003DD8: 7E100301
	v_mov_b32_e32 v9, v1                                       // 000000003DDC: 7E120301
	s_mov_b32 s60, s6                                          // 000000003DE0: BEBC0006
	s_mov_b32 s61, s6                                          // 000000003DE4: BEBD0006
	v_pk_mul_f32 v[4:5], v[44:45], v[44:45]                    // 000000003DE8: D3B14004 1802592C
	v_pk_mul_f32 v[6:7], v[46:47], v[46:47]                    // 000000003DF0: D3B14006 18025D2E
	v_pk_fma_f32 v[4:5], v[4:5], s[78:79], v[8:9]              // 000000003DF8: D3B04004 1C209D04
	v_pk_fma_f32 v[6:7], v[6:7], s[78:79], v[8:9]              // 000000003E00: D3B04006 1C209D06
	v_pk_mul_f32 v[4:5], v[4:5], v[44:45]                      // 000000003E08: D3B14004 18025904
	v_pk_mul_f32 v[6:7], v[6:7], v[46:47]                      // 000000003E10: D3B14006 18025D06
	v_pk_mul_f32 v[4:5], v[4:5], s[60:61]                      // 000000003E18: D3B14004 18007904
	v_pk_mul_f32 v[6:7], v[6:7], s[60:61]                      // 000000003E20: D3B14006 18007906
	v_exp_f32_e32 v4, v4                                       // 000000003E28: 7E084104
	v_exp_f32_e32 v5, v5                                       // 000000003E2C: 7E0A4105
	v_exp_f32_e32 v6, v6                                       // 000000003E30: 7E0C4106
	v_exp_f32_e32 v7, v7                                       // 000000003E34: 7E0E4107
	v_add_f32_e64 v4, v4, 1.0                                  // 000000003E38: D1010004 0001E504
	v_add_f32_e64 v5, v5, 1.0                                  // 000000003E40: D1010005 0001E505
	v_add_f32_e64 v6, v6, 1.0                                  // 000000003E48: D1010006 0001E506
	v_add_f32_e64 v7, v7, 1.0                                  // 000000003E50: D1010007 0001E507
	v_rcp_f32_e32 v4, v4                                       // 000000003E58: 7E084504
	v_rcp_f32_e32 v5, v5                                       // 000000003E5C: 7E0A4505
	v_rcp_f32_e32 v6, v6                                       // 000000003E60: 7E0C4506
	v_rcp_f32_e32 v7, v7                                       // 000000003E64: 7E0E4507
	v_mul_f32_e32 v44, v44, v4                                 // 000000003E68: 0A58092C
	v_mul_f32_e32 v45, v45, v5                                 // 000000003E6C: 0A5A0B2D
	v_mul_f32_e32 v46, v46, v6                                 // 000000003E70: 0A5C0D2E
	v_mul_f32_e32 v47, v47, v7                                 // 000000003E74: 0A5E0F2F
	v_mul_f32_e32 v44, v44, v76                                // 000000003E78: 0A58992C
	v_mul_f32_e32 v45, v45, v77                                // 000000003E7C: 0A5A9B2D
	v_mul_f32_e32 v46, v46, v78                                // 000000003E80: 0A5C9D2E
	v_mul_f32_e32 v47, v47, v79                                // 000000003E84: 0A5E9F2F
	v_pk_mul_f32 v[4:5], v[48:49], v[48:49]                    // 000000003E88: D3B14004 18026130
	v_pk_mul_f32 v[6:7], v[50:51], v[50:51]                    // 000000003E90: D3B14006 18026532
	v_pk_fma_f32 v[4:5], v[4:5], s[78:79], v[8:9]              // 000000003E98: D3B04004 1C209D04
	v_pk_fma_f32 v[6:7], v[6:7], s[78:79], v[8:9]              // 000000003EA0: D3B04006 1C209D06
	v_pk_mul_f32 v[4:5], v[4:5], v[48:49]                      // 000000003EA8: D3B14004 18026104
	v_pk_mul_f32 v[6:7], v[6:7], v[50:51]                      // 000000003EB0: D3B14006 18026506
	v_pk_mul_f32 v[4:5], v[4:5], s[60:61]                      // 000000003EB8: D3B14004 18007904
	v_pk_mul_f32 v[6:7], v[6:7], s[60:61]                      // 000000003EC0: D3B14006 18007906
	v_exp_f32_e32 v4, v4                                       // 000000003EC8: 7E084104
	v_exp_f32_e32 v5, v5                                       // 000000003ECC: 7E0A4105
	v_exp_f32_e32 v6, v6                                       // 000000003ED0: 7E0C4106
	v_exp_f32_e32 v7, v7                                       // 000000003ED4: 7E0E4107
	v_add_f32_e64 v4, v4, 1.0                                  // 000000003ED8: D1010004 0001E504
	v_add_f32_e64 v5, v5, 1.0                                  // 000000003EE0: D1010005 0001E505
	v_add_f32_e64 v6, v6, 1.0                                  // 000000003EE8: D1010006 0001E506
	v_add_f32_e64 v7, v7, 1.0                                  // 000000003EF0: D1010007 0001E507
	v_rcp_f32_e32 v4, v4                                       // 000000003EF8: 7E084504
	v_rcp_f32_e32 v5, v5                                       // 000000003EFC: 7E0A4505
	v_rcp_f32_e32 v6, v6                                       // 000000003F00: 7E0C4506
	v_rcp_f32_e32 v7, v7                                       // 000000003F04: 7E0E4507
	v_mul_f32_e32 v48, v48, v4                                 // 000000003F08: 0A600930
	v_mul_f32_e32 v49, v49, v5                                 // 000000003F0C: 0A620B31
	v_mul_f32_e32 v50, v50, v6                                 // 000000003F10: 0A640D32
	v_mul_f32_e32 v51, v51, v7                                 // 000000003F14: 0A660F33
	v_mul_f32_e32 v48, v48, v80                                // 000000003F18: 0A60A130
	v_mul_f32_e32 v49, v49, v81                                // 000000003F1C: 0A62A331
	v_mul_f32_e32 v50, v50, v82                                // 000000003F20: 0A64A532
	v_mul_f32_e32 v51, v51, v83                                // 000000003F24: 0A66A733
	v_pk_mul_f32 v[4:5], v[52:53], v[52:53]                    // 000000003F28: D3B14004 18026934
	v_pk_mul_f32 v[6:7], v[54:55], v[54:55]                    // 000000003F30: D3B14006 18026D36
	v_pk_fma_f32 v[4:5], v[4:5], s[78:79], v[8:9]              // 000000003F38: D3B04004 1C209D04
	v_pk_fma_f32 v[6:7], v[6:7], s[78:79], v[8:9]              // 000000003F40: D3B04006 1C209D06
	v_pk_mul_f32 v[4:5], v[4:5], v[52:53]                      // 000000003F48: D3B14004 18026904
	v_pk_mul_f32 v[6:7], v[6:7], v[54:55]                      // 000000003F50: D3B14006 18026D06
	v_pk_mul_f32 v[4:5], v[4:5], s[60:61]                      // 000000003F58: D3B14004 18007904
	v_pk_mul_f32 v[6:7], v[6:7], s[60:61]                      // 000000003F60: D3B14006 18007906
	v_exp_f32_e32 v4, v4                                       // 000000003F68: 7E084104
	v_exp_f32_e32 v5, v5                                       // 000000003F6C: 7E0A4105
	v_exp_f32_e32 v6, v6                                       // 000000003F70: 7E0C4106
	v_exp_f32_e32 v7, v7                                       // 000000003F74: 7E0E4107
	v_add_f32_e64 v4, v4, 1.0                                  // 000000003F78: D1010004 0001E504
	v_add_f32_e64 v5, v5, 1.0                                  // 000000003F80: D1010005 0001E505
	v_add_f32_e64 v6, v6, 1.0                                  // 000000003F88: D1010006 0001E506
	v_add_f32_e64 v7, v7, 1.0                                  // 000000003F90: D1010007 0001E507
	v_rcp_f32_e32 v4, v4                                       // 000000003F98: 7E084504
	v_rcp_f32_e32 v5, v5                                       // 000000003F9C: 7E0A4505
	v_rcp_f32_e32 v6, v6                                       // 000000003FA0: 7E0C4506
	v_rcp_f32_e32 v7, v7                                       // 000000003FA4: 7E0E4507
	v_mul_f32_e32 v52, v52, v4                                 // 000000003FA8: 0A680934
	v_mul_f32_e32 v53, v53, v5                                 // 000000003FAC: 0A6A0B35
	v_mul_f32_e32 v54, v54, v6                                 // 000000003FB0: 0A6C0D36
	v_mul_f32_e32 v55, v55, v7                                 // 000000003FB4: 0A6E0F37
	v_mul_f32_e32 v52, v52, v84                                // 000000003FB8: 0A68A934
	v_mul_f32_e32 v53, v53, v85                                // 000000003FBC: 0A6AAB35
	v_mul_f32_e32 v54, v54, v86                                // 000000003FC0: 0A6CAD36
	v_mul_f32_e32 v55, v55, v87                                // 000000003FC4: 0A6EAF37
	v_pk_mul_f32 v[4:5], v[56:57], v[56:57]                    // 000000003FC8: D3B14004 18027138
	v_pk_mul_f32 v[6:7], v[58:59], v[58:59]                    // 000000003FD0: D3B14006 1802753A
	v_pk_fma_f32 v[4:5], v[4:5], s[78:79], v[8:9]              // 000000003FD8: D3B04004 1C209D04
	v_pk_fma_f32 v[6:7], v[6:7], s[78:79], v[8:9]              // 000000003FE0: D3B04006 1C209D06
	v_pk_mul_f32 v[4:5], v[4:5], v[56:57]                      // 000000003FE8: D3B14004 18027104
	v_pk_mul_f32 v[6:7], v[6:7], v[58:59]                      // 000000003FF0: D3B14006 18027506
	v_pk_mul_f32 v[4:5], v[4:5], s[60:61]                      // 000000003FF8: D3B14004 18007904
	v_pk_mul_f32 v[6:7], v[6:7], s[60:61]                      // 000000004000: D3B14006 18007906
	v_exp_f32_e32 v4, v4                                       // 000000004008: 7E084104
	v_exp_f32_e32 v5, v5                                       // 00000000400C: 7E0A4105
	v_exp_f32_e32 v6, v6                                       // 000000004010: 7E0C4106
	v_exp_f32_e32 v7, v7                                       // 000000004014: 7E0E4107
	v_add_f32_e64 v4, v4, 1.0                                  // 000000004018: D1010004 0001E504
	v_add_f32_e64 v5, v5, 1.0                                  // 000000004020: D1010005 0001E505
	v_add_f32_e64 v6, v6, 1.0                                  // 000000004028: D1010006 0001E506
	v_add_f32_e64 v7, v7, 1.0                                  // 000000004030: D1010007 0001E507
	v_rcp_f32_e32 v4, v4                                       // 000000004038: 7E084504
	v_rcp_f32_e32 v5, v5                                       // 00000000403C: 7E0A4505
	v_rcp_f32_e32 v6, v6                                       // 000000004040: 7E0C4506
	v_rcp_f32_e32 v7, v7                                       // 000000004044: 7E0E4507
	v_mul_f32_e32 v56, v56, v4                                 // 000000004048: 0A700938
	v_mul_f32_e32 v57, v57, v5                                 // 00000000404C: 0A720B39
	v_mul_f32_e32 v58, v58, v6                                 // 000000004050: 0A740D3A
	v_mul_f32_e32 v59, v59, v7                                 // 000000004054: 0A760F3B
	v_mul_f32_e32 v56, v56, v88                                // 000000004058: 0A70B138
	v_mul_f32_e32 v57, v57, v89                                // 00000000405C: 0A72B339
	v_mul_f32_e32 v58, v58, v90                                // 000000004060: 0A74B53A
	v_mul_f32_e32 v59, v59, v91                                // 000000004064: 0A76B73B
	v_pk_mul_f32 v[4:5], v[60:61], v[60:61]                    // 000000004068: D3B14004 1802793C
	v_pk_mul_f32 v[6:7], v[62:63], v[62:63]                    // 000000004070: D3B14006 18027D3E
	v_pk_fma_f32 v[4:5], v[4:5], s[78:79], v[8:9]              // 000000004078: D3B04004 1C209D04
	v_pk_fma_f32 v[6:7], v[6:7], s[78:79], v[8:9]              // 000000004080: D3B04006 1C209D06
	v_pk_mul_f32 v[4:5], v[4:5], v[60:61]                      // 000000004088: D3B14004 18027904
	v_pk_mul_f32 v[6:7], v[6:7], v[62:63]                      // 000000004090: D3B14006 18027D06
	v_pk_mul_f32 v[4:5], v[4:5], s[60:61]                      // 000000004098: D3B14004 18007904
	v_pk_mul_f32 v[6:7], v[6:7], s[60:61]                      // 0000000040A0: D3B14006 18007906
	v_exp_f32_e32 v4, v4                                       // 0000000040A8: 7E084104
	v_exp_f32_e32 v5, v5                                       // 0000000040AC: 7E0A4105
	v_exp_f32_e32 v6, v6                                       // 0000000040B0: 7E0C4106
	v_exp_f32_e32 v7, v7                                       // 0000000040B4: 7E0E4107
	v_add_f32_e64 v4, v4, 1.0                                  // 0000000040B8: D1010004 0001E504
	v_add_f32_e64 v5, v5, 1.0                                  // 0000000040C0: D1010005 0001E505
	v_add_f32_e64 v6, v6, 1.0                                  // 0000000040C8: D1010006 0001E506
	v_add_f32_e64 v7, v7, 1.0                                  // 0000000040D0: D1010007 0001E507
	v_rcp_f32_e32 v4, v4                                       // 0000000040D8: 7E084504
	v_rcp_f32_e32 v5, v5                                       // 0000000040DC: 7E0A4505
	v_rcp_f32_e32 v6, v6                                       // 0000000040E0: 7E0C4506
	v_rcp_f32_e32 v7, v7                                       // 0000000040E4: 7E0E4507
	v_mul_f32_e32 v60, v60, v4                                 // 0000000040E8: 0A78093C
	v_mul_f32_e32 v61, v61, v5                                 // 0000000040EC: 0A7A0B3D
	v_mul_f32_e32 v62, v62, v6                                 // 0000000040F0: 0A7C0D3E
	v_mul_f32_e32 v63, v63, v7                                 // 0000000040F4: 0A7E0F3F
	v_mul_f32_e32 v60, v60, v92                                // 0000000040F8: 0A78B93C
	v_mul_f32_e32 v61, v61, v93                                // 0000000040FC: 0A7ABB3D
	v_mul_f32_e32 v62, v62, v94                                // 000000004100: 0A7CBD3E
	v_mul_f32_e32 v63, v63, v95                                // 000000004104: 0A7EBF3F
	v_pk_mul_f32 v[4:5], v[64:65], v[64:65]                    // 000000004108: D3B14004 18028140
	v_pk_mul_f32 v[6:7], v[66:67], v[66:67]                    // 000000004110: D3B14006 18028542
	v_pk_fma_f32 v[4:5], v[4:5], s[78:79], v[8:9]              // 000000004118: D3B04004 1C209D04
	v_pk_fma_f32 v[6:7], v[6:7], s[78:79], v[8:9]              // 000000004120: D3B04006 1C209D06
	v_pk_mul_f32 v[4:5], v[4:5], v[64:65]                      // 000000004128: D3B14004 18028104
	v_pk_mul_f32 v[6:7], v[6:7], v[66:67]                      // 000000004130: D3B14006 18028506
	v_pk_mul_f32 v[4:5], v[4:5], s[60:61]                      // 000000004138: D3B14004 18007904
	v_pk_mul_f32 v[6:7], v[6:7], s[60:61]                      // 000000004140: D3B14006 18007906
	v_exp_f32_e32 v4, v4                                       // 000000004148: 7E084104
	v_exp_f32_e32 v5, v5                                       // 00000000414C: 7E0A4105
	v_exp_f32_e32 v6, v6                                       // 000000004150: 7E0C4106
	v_exp_f32_e32 v7, v7                                       // 000000004154: 7E0E4107
	v_add_f32_e64 v4, v4, 1.0                                  // 000000004158: D1010004 0001E504
	v_add_f32_e64 v5, v5, 1.0                                  // 000000004160: D1010005 0001E505
	v_add_f32_e64 v6, v6, 1.0                                  // 000000004168: D1010006 0001E506
	v_add_f32_e64 v7, v7, 1.0                                  // 000000004170: D1010007 0001E507
	v_rcp_f32_e32 v4, v4                                       // 000000004178: 7E084504
	v_rcp_f32_e32 v5, v5                                       // 00000000417C: 7E0A4505
	v_rcp_f32_e32 v6, v6                                       // 000000004180: 7E0C4506
	v_rcp_f32_e32 v7, v7                                       // 000000004184: 7E0E4507
	v_mul_f32_e32 v64, v64, v4                                 // 000000004188: 0A800940
	v_mul_f32_e32 v65, v65, v5                                 // 00000000418C: 0A820B41
	v_mul_f32_e32 v66, v66, v6                                 // 000000004190: 0A840D42
	v_mul_f32_e32 v67, v67, v7                                 // 000000004194: 0A860F43
	v_mul_f32_e32 v64, v64, v96                                // 000000004198: 0A80C140
	v_mul_f32_e32 v65, v65, v97                                // 00000000419C: 0A82C341
	v_mul_f32_e32 v66, v66, v98                                // 0000000041A0: 0A84C542
	v_mul_f32_e32 v67, v67, v99                                // 0000000041A4: 0A86C743
	v_pk_mul_f32 v[4:5], v[68:69], v[68:69]                    // 0000000041A8: D3B14004 18028944
	v_pk_mul_f32 v[6:7], v[70:71], v[70:71]                    // 0000000041B0: D3B14006 18028D46
	v_pk_fma_f32 v[4:5], v[4:5], s[78:79], v[8:9]              // 0000000041B8: D3B04004 1C209D04
	v_pk_fma_f32 v[6:7], v[6:7], s[78:79], v[8:9]              // 0000000041C0: D3B04006 1C209D06
	v_pk_mul_f32 v[4:5], v[4:5], v[68:69]                      // 0000000041C8: D3B14004 18028904
	v_pk_mul_f32 v[6:7], v[6:7], v[70:71]                      // 0000000041D0: D3B14006 18028D06
	v_pk_mul_f32 v[4:5], v[4:5], s[60:61]                      // 0000000041D8: D3B14004 18007904
	v_pk_mul_f32 v[6:7], v[6:7], s[60:61]                      // 0000000041E0: D3B14006 18007906
	v_exp_f32_e32 v4, v4                                       // 0000000041E8: 7E084104
	v_exp_f32_e32 v5, v5                                       // 0000000041EC: 7E0A4105
	v_exp_f32_e32 v6, v6                                       // 0000000041F0: 7E0C4106
	v_exp_f32_e32 v7, v7                                       // 0000000041F4: 7E0E4107
	v_add_f32_e64 v4, v4, 1.0                                  // 0000000041F8: D1010004 0001E504
	v_add_f32_e64 v5, v5, 1.0                                  // 000000004200: D1010005 0001E505
	v_add_f32_e64 v6, v6, 1.0                                  // 000000004208: D1010006 0001E506
	v_add_f32_e64 v7, v7, 1.0                                  // 000000004210: D1010007 0001E507
	v_rcp_f32_e32 v4, v4                                       // 000000004218: 7E084504
	v_rcp_f32_e32 v5, v5                                       // 00000000421C: 7E0A4505
	v_rcp_f32_e32 v6, v6                                       // 000000004220: 7E0C4506
	v_rcp_f32_e32 v7, v7                                       // 000000004224: 7E0E4507
	v_mul_f32_e32 v68, v68, v4                                 // 000000004228: 0A880944
	v_mul_f32_e32 v69, v69, v5                                 // 00000000422C: 0A8A0B45
	v_mul_f32_e32 v70, v70, v6                                 // 000000004230: 0A8C0D46
	v_mul_f32_e32 v71, v71, v7                                 // 000000004234: 0A8E0F47
	v_mul_f32_e32 v68, v68, v100                               // 000000004238: 0A88C944
	v_mul_f32_e32 v69, v69, v101                               // 00000000423C: 0A8ACB45
	v_mul_f32_e32 v70, v70, v102                               // 000000004240: 0A8CCD46
	v_mul_f32_e32 v71, v71, v103                               // 000000004244: 0A8ECF47
	v_pk_mul_f32 v[4:5], v[72:73], v[72:73]                    // 000000004248: D3B14004 18029148
	v_pk_mul_f32 v[6:7], v[74:75], v[74:75]                    // 000000004250: D3B14006 1802954A
	v_pk_fma_f32 v[4:5], v[4:5], s[78:79], v[8:9]              // 000000004258: D3B04004 1C209D04
	v_pk_fma_f32 v[6:7], v[6:7], s[78:79], v[8:9]              // 000000004260: D3B04006 1C209D06
	v_pk_mul_f32 v[4:5], v[4:5], v[72:73]                      // 000000004268: D3B14004 18029104
	v_pk_mul_f32 v[6:7], v[6:7], v[74:75]                      // 000000004270: D3B14006 18029506
	v_pk_mul_f32 v[4:5], v[4:5], s[60:61]                      // 000000004278: D3B14004 18007904
	v_pk_mul_f32 v[6:7], v[6:7], s[60:61]                      // 000000004280: D3B14006 18007906
	v_exp_f32_e32 v4, v4                                       // 000000004288: 7E084104
	v_exp_f32_e32 v5, v5                                       // 00000000428C: 7E0A4105
	v_exp_f32_e32 v6, v6                                       // 000000004290: 7E0C4106
	v_exp_f32_e32 v7, v7                                       // 000000004294: 7E0E4107
	v_add_f32_e64 v4, v4, 1.0                                  // 000000004298: D1010004 0001E504
	v_add_f32_e64 v5, v5, 1.0                                  // 0000000042A0: D1010005 0001E505
	v_add_f32_e64 v6, v6, 1.0                                  // 0000000042A8: D1010006 0001E506
	v_add_f32_e64 v7, v7, 1.0                                  // 0000000042B0: D1010007 0001E507
	v_rcp_f32_e32 v4, v4                                       // 0000000042B8: 7E084504
	v_rcp_f32_e32 v5, v5                                       // 0000000042BC: 7E0A4505
	v_rcp_f32_e32 v6, v6                                       // 0000000042C0: 7E0C4506
	v_rcp_f32_e32 v7, v7                                       // 0000000042C4: 7E0E4507
	v_mul_f32_e32 v72, v72, v4                                 // 0000000042C8: 0A900948
	v_mul_f32_e32 v73, v73, v5                                 // 0000000042CC: 0A920B49
	v_mul_f32_e32 v74, v74, v6                                 // 0000000042D0: 0A940D4A
	v_mul_f32_e32 v75, v75, v7                                 // 0000000042D4: 0A960F4B
	v_mul_f32_e32 v72, v72, v104                               // 0000000042D8: 0A90D148
	v_mul_f32_e32 v73, v73, v105                               // 0000000042DC: 0A92D349
	v_mul_f32_e32 v74, v74, v106                               // 0000000042E0: 0A94D54A
	v_mul_f32_e32 v75, v75, v107                               // 0000000042E4: 0A96D74B
	s_branch label_073B                                        // 0000000042E8: BF820100

00000000000042ec <label_063B>:
	v_mul_f32_e64 v4, -v44, s6                                 // 0000000042EC: D1050004 20000D2C
	v_mul_f32_e64 v5, -v45, s6                                 // 0000000042F4: D1050005 20000D2D
	v_mul_f32_e64 v6, -v46, s6                                 // 0000000042FC: D1050006 20000D2E
	v_mul_f32_e64 v7, -v47, s6                                 // 000000004304: D1050007 20000D2F
	v_exp_f32_e32 v4, v4                                       // 00000000430C: 7E084104
	v_exp_f32_e32 v5, v5                                       // 000000004310: 7E0A4105
	v_exp_f32_e32 v6, v6                                       // 000000004314: 7E0C4106
	v_exp_f32_e32 v7, v7                                       // 000000004318: 7E0E4107
	v_add_f32_e64 v4, v4, 1.0                                  // 00000000431C: D1010004 0001E504
	v_add_f32_e64 v5, v5, 1.0                                  // 000000004324: D1010005 0001E505
	v_add_f32_e64 v6, v6, 1.0                                  // 00000000432C: D1010006 0001E506
	v_add_f32_e64 v7, v7, 1.0                                  // 000000004334: D1010007 0001E507
	v_rcp_f32_e32 v4, v4                                       // 00000000433C: 7E084504
	v_rcp_f32_e32 v5, v5                                       // 000000004340: 7E0A4505
	v_rcp_f32_e32 v6, v6                                       // 000000004344: 7E0C4506
	v_rcp_f32_e32 v7, v7                                       // 000000004348: 7E0E4507
	v_mul_f32_e32 v44, v44, v4                                 // 00000000434C: 0A58092C
	v_mul_f32_e32 v45, v45, v5                                 // 000000004350: 0A5A0B2D
	v_mul_f32_e32 v46, v46, v6                                 // 000000004354: 0A5C0D2E
	v_mul_f32_e32 v47, v47, v7                                 // 000000004358: 0A5E0F2F
	v_mul_f32_e32 v44, v44, v76                                // 00000000435C: 0A58992C
	v_mul_f32_e32 v45, v45, v77                                // 000000004360: 0A5A9B2D
	v_mul_f32_e32 v46, v46, v78                                // 000000004364: 0A5C9D2E
	v_mul_f32_e32 v47, v47, v79                                // 000000004368: 0A5E9F2F
	v_mul_f32_e64 v4, -v48, s6                                 // 00000000436C: D1050004 20000D30
	v_mul_f32_e64 v5, -v49, s6                                 // 000000004374: D1050005 20000D31
	v_mul_f32_e64 v6, -v50, s6                                 // 00000000437C: D1050006 20000D32
	v_mul_f32_e64 v7, -v51, s6                                 // 000000004384: D1050007 20000D33
	v_exp_f32_e32 v4, v4                                       // 00000000438C: 7E084104
	v_exp_f32_e32 v5, v5                                       // 000000004390: 7E0A4105
	v_exp_f32_e32 v6, v6                                       // 000000004394: 7E0C4106
	v_exp_f32_e32 v7, v7                                       // 000000004398: 7E0E4107
	v_add_f32_e64 v4, v4, 1.0                                  // 00000000439C: D1010004 0001E504
	v_add_f32_e64 v5, v5, 1.0                                  // 0000000043A4: D1010005 0001E505
	v_add_f32_e64 v6, v6, 1.0                                  // 0000000043AC: D1010006 0001E506
	v_add_f32_e64 v7, v7, 1.0                                  // 0000000043B4: D1010007 0001E507
	v_rcp_f32_e32 v4, v4                                       // 0000000043BC: 7E084504
	v_rcp_f32_e32 v5, v5                                       // 0000000043C0: 7E0A4505
	v_rcp_f32_e32 v6, v6                                       // 0000000043C4: 7E0C4506
	v_rcp_f32_e32 v7, v7                                       // 0000000043C8: 7E0E4507
	v_mul_f32_e32 v48, v48, v4                                 // 0000000043CC: 0A600930
	v_mul_f32_e32 v49, v49, v5                                 // 0000000043D0: 0A620B31
	v_mul_f32_e32 v50, v50, v6                                 // 0000000043D4: 0A640D32
	v_mul_f32_e32 v51, v51, v7                                 // 0000000043D8: 0A660F33
	v_mul_f32_e32 v48, v48, v80                                // 0000000043DC: 0A60A130
	v_mul_f32_e32 v49, v49, v81                                // 0000000043E0: 0A62A331
	v_mul_f32_e32 v50, v50, v82                                // 0000000043E4: 0A64A532
	v_mul_f32_e32 v51, v51, v83                                // 0000000043E8: 0A66A733
	v_mul_f32_e64 v4, -v52, s6                                 // 0000000043EC: D1050004 20000D34
	v_mul_f32_e64 v5, -v53, s6                                 // 0000000043F4: D1050005 20000D35
	v_mul_f32_e64 v6, -v54, s6                                 // 0000000043FC: D1050006 20000D36
	v_mul_f32_e64 v7, -v55, s6                                 // 000000004404: D1050007 20000D37
	v_exp_f32_e32 v4, v4                                       // 00000000440C: 7E084104
	v_exp_f32_e32 v5, v5                                       // 000000004410: 7E0A4105
	v_exp_f32_e32 v6, v6                                       // 000000004414: 7E0C4106
	v_exp_f32_e32 v7, v7                                       // 000000004418: 7E0E4107
	v_add_f32_e64 v4, v4, 1.0                                  // 00000000441C: D1010004 0001E504
	v_add_f32_e64 v5, v5, 1.0                                  // 000000004424: D1010005 0001E505
	v_add_f32_e64 v6, v6, 1.0                                  // 00000000442C: D1010006 0001E506
	v_add_f32_e64 v7, v7, 1.0                                  // 000000004434: D1010007 0001E507
	v_rcp_f32_e32 v4, v4                                       // 00000000443C: 7E084504
	v_rcp_f32_e32 v5, v5                                       // 000000004440: 7E0A4505
	v_rcp_f32_e32 v6, v6                                       // 000000004444: 7E0C4506
	v_rcp_f32_e32 v7, v7                                       // 000000004448: 7E0E4507
	v_mul_f32_e32 v52, v52, v4                                 // 00000000444C: 0A680934
	v_mul_f32_e32 v53, v53, v5                                 // 000000004450: 0A6A0B35
	v_mul_f32_e32 v54, v54, v6                                 // 000000004454: 0A6C0D36
	v_mul_f32_e32 v55, v55, v7                                 // 000000004458: 0A6E0F37
	v_mul_f32_e32 v52, v52, v84                                // 00000000445C: 0A68A934
	v_mul_f32_e32 v53, v53, v85                                // 000000004460: 0A6AAB35
	v_mul_f32_e32 v54, v54, v86                                // 000000004464: 0A6CAD36
	v_mul_f32_e32 v55, v55, v87                                // 000000004468: 0A6EAF37
	v_mul_f32_e64 v4, -v56, s6                                 // 00000000446C: D1050004 20000D38
	v_mul_f32_e64 v5, -v57, s6                                 // 000000004474: D1050005 20000D39
	v_mul_f32_e64 v6, -v58, s6                                 // 00000000447C: D1050006 20000D3A
	v_mul_f32_e64 v7, -v59, s6                                 // 000000004484: D1050007 20000D3B
	v_exp_f32_e32 v4, v4                                       // 00000000448C: 7E084104
	v_exp_f32_e32 v5, v5                                       // 000000004490: 7E0A4105
	v_exp_f32_e32 v6, v6                                       // 000000004494: 7E0C4106
	v_exp_f32_e32 v7, v7                                       // 000000004498: 7E0E4107
	v_add_f32_e64 v4, v4, 1.0                                  // 00000000449C: D1010004 0001E504
	v_add_f32_e64 v5, v5, 1.0                                  // 0000000044A4: D1010005 0001E505
	v_add_f32_e64 v6, v6, 1.0                                  // 0000000044AC: D1010006 0001E506
	v_add_f32_e64 v7, v7, 1.0                                  // 0000000044B4: D1010007 0001E507
	v_rcp_f32_e32 v4, v4                                       // 0000000044BC: 7E084504
	v_rcp_f32_e32 v5, v5                                       // 0000000044C0: 7E0A4505
	v_rcp_f32_e32 v6, v6                                       // 0000000044C4: 7E0C4506
	v_rcp_f32_e32 v7, v7                                       // 0000000044C8: 7E0E4507
	v_mul_f32_e32 v56, v56, v4                                 // 0000000044CC: 0A700938
	v_mul_f32_e32 v57, v57, v5                                 // 0000000044D0: 0A720B39
	v_mul_f32_e32 v58, v58, v6                                 // 0000000044D4: 0A740D3A
	v_mul_f32_e32 v59, v59, v7                                 // 0000000044D8: 0A760F3B
	v_mul_f32_e32 v56, v56, v88                                // 0000000044DC: 0A70B138
	v_mul_f32_e32 v57, v57, v89                                // 0000000044E0: 0A72B339
	v_mul_f32_e32 v58, v58, v90                                // 0000000044E4: 0A74B53A
	v_mul_f32_e32 v59, v59, v91                                // 0000000044E8: 0A76B73B
	v_mul_f32_e64 v4, -v60, s6                                 // 0000000044EC: D1050004 20000D3C
	v_mul_f32_e64 v5, -v61, s6                                 // 0000000044F4: D1050005 20000D3D
	v_mul_f32_e64 v6, -v62, s6                                 // 0000000044FC: D1050006 20000D3E
	v_mul_f32_e64 v7, -v63, s6                                 // 000000004504: D1050007 20000D3F
	v_exp_f32_e32 v4, v4                                       // 00000000450C: 7E084104
	v_exp_f32_e32 v5, v5                                       // 000000004510: 7E0A4105
	v_exp_f32_e32 v6, v6                                       // 000000004514: 7E0C4106
	v_exp_f32_e32 v7, v7                                       // 000000004518: 7E0E4107
	v_add_f32_e64 v4, v4, 1.0                                  // 00000000451C: D1010004 0001E504
	v_add_f32_e64 v5, v5, 1.0                                  // 000000004524: D1010005 0001E505
	v_add_f32_e64 v6, v6, 1.0                                  // 00000000452C: D1010006 0001E506
	v_add_f32_e64 v7, v7, 1.0                                  // 000000004534: D1010007 0001E507
	v_rcp_f32_e32 v4, v4                                       // 00000000453C: 7E084504
	v_rcp_f32_e32 v5, v5                                       // 000000004540: 7E0A4505
	v_rcp_f32_e32 v6, v6                                       // 000000004544: 7E0C4506
	v_rcp_f32_e32 v7, v7                                       // 000000004548: 7E0E4507
	v_mul_f32_e32 v60, v60, v4                                 // 00000000454C: 0A78093C
	v_mul_f32_e32 v61, v61, v5                                 // 000000004550: 0A7A0B3D
	v_mul_f32_e32 v62, v62, v6                                 // 000000004554: 0A7C0D3E
	v_mul_f32_e32 v63, v63, v7                                 // 000000004558: 0A7E0F3F
	v_mul_f32_e32 v60, v60, v92                                // 00000000455C: 0A78B93C
	v_mul_f32_e32 v61, v61, v93                                // 000000004560: 0A7ABB3D
	v_mul_f32_e32 v62, v62, v94                                // 000000004564: 0A7CBD3E
	v_mul_f32_e32 v63, v63, v95                                // 000000004568: 0A7EBF3F
	v_mul_f32_e64 v4, -v64, s6                                 // 00000000456C: D1050004 20000D40
	v_mul_f32_e64 v5, -v65, s6                                 // 000000004574: D1050005 20000D41
	v_mul_f32_e64 v6, -v66, s6                                 // 00000000457C: D1050006 20000D42
	v_mul_f32_e64 v7, -v67, s6                                 // 000000004584: D1050007 20000D43
	v_exp_f32_e32 v4, v4                                       // 00000000458C: 7E084104
	v_exp_f32_e32 v5, v5                                       // 000000004590: 7E0A4105
	v_exp_f32_e32 v6, v6                                       // 000000004594: 7E0C4106
	v_exp_f32_e32 v7, v7                                       // 000000004598: 7E0E4107
	v_add_f32_e64 v4, v4, 1.0                                  // 00000000459C: D1010004 0001E504
	v_add_f32_e64 v5, v5, 1.0                                  // 0000000045A4: D1010005 0001E505
	v_add_f32_e64 v6, v6, 1.0                                  // 0000000045AC: D1010006 0001E506
	v_add_f32_e64 v7, v7, 1.0                                  // 0000000045B4: D1010007 0001E507
	v_rcp_f32_e32 v4, v4                                       // 0000000045BC: 7E084504
	v_rcp_f32_e32 v5, v5                                       // 0000000045C0: 7E0A4505
	v_rcp_f32_e32 v6, v6                                       // 0000000045C4: 7E0C4506
	v_rcp_f32_e32 v7, v7                                       // 0000000045C8: 7E0E4507
	v_mul_f32_e32 v64, v64, v4                                 // 0000000045CC: 0A800940
	v_mul_f32_e32 v65, v65, v5                                 // 0000000045D0: 0A820B41
	v_mul_f32_e32 v66, v66, v6                                 // 0000000045D4: 0A840D42
	v_mul_f32_e32 v67, v67, v7                                 // 0000000045D8: 0A860F43
	v_mul_f32_e32 v64, v64, v96                                // 0000000045DC: 0A80C140
	v_mul_f32_e32 v65, v65, v97                                // 0000000045E0: 0A82C341
	v_mul_f32_e32 v66, v66, v98                                // 0000000045E4: 0A84C542
	v_mul_f32_e32 v67, v67, v99                                // 0000000045E8: 0A86C743
	v_mul_f32_e64 v4, -v68, s6                                 // 0000000045EC: D1050004 20000D44
	v_mul_f32_e64 v5, -v69, s6                                 // 0000000045F4: D1050005 20000D45
	v_mul_f32_e64 v6, -v70, s6                                 // 0000000045FC: D1050006 20000D46
	v_mul_f32_e64 v7, -v71, s6                                 // 000000004604: D1050007 20000D47
	v_exp_f32_e32 v4, v4                                       // 00000000460C: 7E084104
	v_exp_f32_e32 v5, v5                                       // 000000004610: 7E0A4105
	v_exp_f32_e32 v6, v6                                       // 000000004614: 7E0C4106
	v_exp_f32_e32 v7, v7                                       // 000000004618: 7E0E4107
	v_add_f32_e64 v4, v4, 1.0                                  // 00000000461C: D1010004 0001E504
	v_add_f32_e64 v5, v5, 1.0                                  // 000000004624: D1010005 0001E505
	v_add_f32_e64 v6, v6, 1.0                                  // 00000000462C: D1010006 0001E506
	v_add_f32_e64 v7, v7, 1.0                                  // 000000004634: D1010007 0001E507
	v_rcp_f32_e32 v4, v4                                       // 00000000463C: 7E084504
	v_rcp_f32_e32 v5, v5                                       // 000000004640: 7E0A4505
	v_rcp_f32_e32 v6, v6                                       // 000000004644: 7E0C4506
	v_rcp_f32_e32 v7, v7                                       // 000000004648: 7E0E4507
	v_mul_f32_e32 v68, v68, v4                                 // 00000000464C: 0A880944
	v_mul_f32_e32 v69, v69, v5                                 // 000000004650: 0A8A0B45
	v_mul_f32_e32 v70, v70, v6                                 // 000000004654: 0A8C0D46
	v_mul_f32_e32 v71, v71, v7                                 // 000000004658: 0A8E0F47
	v_mul_f32_e32 v68, v68, v100                               // 00000000465C: 0A88C944
	v_mul_f32_e32 v69, v69, v101                               // 000000004660: 0A8ACB45
	v_mul_f32_e32 v70, v70, v102                               // 000000004664: 0A8CCD46
	v_mul_f32_e32 v71, v71, v103                               // 000000004668: 0A8ECF47
	v_mul_f32_e64 v4, -v72, s6                                 // 00000000466C: D1050004 20000D48
	v_mul_f32_e64 v5, -v73, s6                                 // 000000004674: D1050005 20000D49
	v_mul_f32_e64 v6, -v74, s6                                 // 00000000467C: D1050006 20000D4A
	v_mul_f32_e64 v7, -v75, s6                                 // 000000004684: D1050007 20000D4B
	v_exp_f32_e32 v4, v4                                       // 00000000468C: 7E084104
	v_exp_f32_e32 v5, v5                                       // 000000004690: 7E0A4105
	v_exp_f32_e32 v6, v6                                       // 000000004694: 7E0C4106
	v_exp_f32_e32 v7, v7                                       // 000000004698: 7E0E4107
	v_add_f32_e64 v4, v4, 1.0                                  // 00000000469C: D1010004 0001E504
	v_add_f32_e64 v5, v5, 1.0                                  // 0000000046A4: D1010005 0001E505
	v_add_f32_e64 v6, v6, 1.0                                  // 0000000046AC: D1010006 0001E506
	v_add_f32_e64 v7, v7, 1.0                                  // 0000000046B4: D1010007 0001E507
	v_rcp_f32_e32 v4, v4                                       // 0000000046BC: 7E084504
	v_rcp_f32_e32 v5, v5                                       // 0000000046C0: 7E0A4505
	v_rcp_f32_e32 v6, v6                                       // 0000000046C4: 7E0C4506
	v_rcp_f32_e32 v7, v7                                       // 0000000046C8: 7E0E4507
	v_mul_f32_e32 v72, v72, v4                                 // 0000000046CC: 0A900948
	v_mul_f32_e32 v73, v73, v5                                 // 0000000046D0: 0A920B49
	v_mul_f32_e32 v74, v74, v6                                 // 0000000046D4: 0A940D4A
	v_mul_f32_e32 v75, v75, v7                                 // 0000000046D8: 0A960F4B
	v_mul_f32_e32 v72, v72, v104                               // 0000000046DC: 0A90D148
	v_mul_f32_e32 v73, v73, v105                               // 0000000046E0: 0A92D349
	v_mul_f32_e32 v74, v74, v106                               // 0000000046E4: 0A94D54A
	v_mul_f32_e32 v75, v75, v107                               // 0000000046E8: 0A96D74B

00000000000046ec <label_073B>:
	s_cmp_eq_u32 s7, 0                                         // 0000000046EC: BF068007
	s_cbranch_scc0 label_0745                                  // 0000000046F0: BF840008
	v_and_b32_e32 v4, 15, v0                                   // 0000000046F4: 2608008F
	v_lshlrev_b32_e32 v4, 2, v4                                // 0000000046F8: 24080882
	buffer_load_dword v28, v4, s[12:15], 0 offen               // 0000000046FC: E0501000 80031C04
	v_add_u32_e32 v4, 64, v4                                   // 000000004704: 680808C0
	buffer_load_dword v29, v4, s[12:15], 0 offen               // 000000004708: E0501000 80031D04
	v_add_u32_e32 v4, 64, v4                                   // 000000004710: 680808C0

0000000000004714 <label_0745>:
	v_lshlrev_b32_e32 v4, 2, v0                                // 000000004714: 24080082
	s_mul_i32 s60, 0x100, s7                                   // 000000004718: 923C07FF 00000100
	v_add_u32_e32 v80, s60, v4                                 // 000000004720: 68A0083C
	v_and_b32_e32 v4, 15, v0                                   // 000000004724: 2608008F
	v_lshlrev_b32_e32 v81, 2, v4                               // 000000004728: 24A20882
	s_waitcnt lgkmcnt(0)                                       // 00000000472C: BF8CC07F
	s_barrier                                                  // 000000004730: BF8A0000
	v_mov_b32_e32 v76, 0x358637bd                              // 000000004734: 7E9802FF 358637BD
	v_max3_f32 v76, |v44|, |v45|, v76                          // 00000000473C: D1D3034C 05325B2C
	v_max3_f32 v76, |v46|, |v47|, v76                          // 000000004744: D1D3034C 05325F2E
	v_max3_f32 v76, |v52|, |v53|, v76                          // 00000000474C: D1D3034C 05326B34
	v_max3_f32 v76, |v54|, |v55|, v76                          // 000000004754: D1D3034C 05326F36
	ds_write_b32 v80, v76                                      // 00000000475C: D81A0000 00004C50
	s_waitcnt lgkmcnt(0)                                       // 000000004764: BF8CC07F
	s_barrier                                                  // 000000004768: BF8A0000
	ds_read_b32 v4, v81                                        // 00000000476C: D86C0000 04000051
	ds_read_b32 v5, v81 offset:64                              // 000000004774: D86C0040 05000051
	ds_read_b32 v6, v81 offset:128                             // 00000000477C: D86C0080 06000051
	ds_read_b32 v7, v81 offset:192                             // 000000004784: D86C00C0 07000051
	ds_read_b32 v8, v81 offset:256                             // 00000000478C: D86C0100 08000051
	ds_read_b32 v9, v81 offset:320                             // 000000004794: D86C0140 09000051
	ds_read_b32 v10, v81 offset:384                            // 00000000479C: D86C0180 0A000051
	ds_read_b32 v11, v81 offset:448                            // 0000000047A4: D86C01C0 0B000051
	ds_read_b32 v12, v81 offset:512                            // 0000000047AC: D86C0200 0C000051
	ds_read_b32 v13, v81 offset:576                            // 0000000047B4: D86C0240 0D000051
	ds_read_b32 v14, v81 offset:640                            // 0000000047BC: D86C0280 0E000051
	ds_read_b32 v15, v81 offset:704                            // 0000000047C4: D86C02C0 0F000051
	ds_read_b32 v16, v81 offset:768                            // 0000000047CC: D86C0300 10000051
	ds_read_b32 v17, v81 offset:832                            // 0000000047D4: D86C0340 11000051
	ds_read_b32 v18, v81 offset:896                            // 0000000047DC: D86C0380 12000051
	ds_read_b32 v19, v81 offset:960                            // 0000000047E4: D86C03C0 13000051
	s_waitcnt lgkmcnt(0)                                       // 0000000047EC: BF8CC07F
	s_barrier                                                  // 0000000047F0: BF8A0000
	v_max3_f32 v76, |v4|, |v5|, v76                            // 0000000047F4: D1D3034C 05320B04
	v_max3_f32 v76, |v6|, |v7|, v76                            // 0000000047FC: D1D3034C 05320F06
	v_max3_f32 v76, |v8|, |v9|, v76                            // 000000004804: D1D3034C 05321308
	v_max3_f32 v76, |v10|, |v11|, v76                          // 00000000480C: D1D3034C 0532170A
	v_max3_f32 v76, |v12|, |v13|, v76                          // 000000004814: D1D3034C 05321B0C
	v_max3_f32 v76, |v14|, |v15|, v76                          // 00000000481C: D1D3034C 05321F0E
	v_max3_f32 v76, |v16|, |v17|, v76                          // 000000004824: D1D3034C 05322310
	v_max3_f32 v76, |v18|, |v19|, v76                          // 00000000482C: D1D3034C 05322712
	v_rcp_f32_e32 v76, v76                                     // 000000004834: 7E98454C
	v_mov_b32_e32 v4, 0x43700000                               // 000000004838: 7E0802FF 43700000
	v_mul_f32_e32 v76, v4, v76                                 // 000000004840: 0A989904
	v_mov_b32_e32 v4, v76                                      // 000000004844: 7E08034C
	v_mov_b32_e32 v5, v4                                       // 000000004848: 7E0A0304
	v_pk_mul_f32 v[44:45], v[4:5], v[44:45]                    // 00000000484C: D3B1402C 18025904
	v_pk_mul_f32 v[46:47], v[4:5], v[46:47]                    // 000000004854: D3B1402E 18025D04
	v_cvt_pk_fp8_f32 v44, v44, v45                             // 00000000485C: D2A2002C 00025B2C
	v_cvt_pk_fp8_f32 v44, v46, v47 op_sel:[0,0,1]              // 000000004864: D2A2402C 00025F2E
	v_pk_mul_f32 v[52:53], v[4:5], v[52:53]                    // 00000000486C: D3B14034 18026904
	v_pk_mul_f32 v[54:55], v[4:5], v[54:55]                    // 000000004874: D3B14036 18026D04
	v_cvt_pk_fp8_f32 v52, v52, v53                             // 00000000487C: D2A20034 00026B34
	v_cvt_pk_fp8_f32 v52, v54, v55 op_sel:[0,0,1]              // 000000004884: D2A24034 00026F36
	v_rcp_f32_e32 v76, v76                                     // 00000000488C: 7E98454C
	v_mov_b32_e32 v78, 0x358637bd                              // 000000004890: 7E9C02FF 358637BD
	v_max3_f32 v78, |v60|, |v61|, v78                          // 000000004898: D1D3034E 053A7B3C
	v_max3_f32 v78, |v62|, |v63|, v78                          // 0000000048A0: D1D3034E 053A7F3E
	v_max3_f32 v78, |v68|, |v69|, v78                          // 0000000048A8: D1D3034E 053A8B44
	v_max3_f32 v78, |v70|, |v71|, v78                          // 0000000048B0: D1D3034E 053A8F46
	ds_write_b32 v80, v78                                      // 0000000048B8: D81A0000 00004E50
	s_waitcnt lgkmcnt(0)                                       // 0000000048C0: BF8CC07F
	s_barrier                                                  // 0000000048C4: BF8A0000
	ds_read_b32 v4, v81                                        // 0000000048C8: D86C0000 04000051
	ds_read_b32 v5, v81 offset:64                              // 0000000048D0: D86C0040 05000051
	ds_read_b32 v6, v81 offset:128                             // 0000000048D8: D86C0080 06000051
	ds_read_b32 v7, v81 offset:192                             // 0000000048E0: D86C00C0 07000051
	ds_read_b32 v8, v81 offset:256                             // 0000000048E8: D86C0100 08000051
	ds_read_b32 v9, v81 offset:320                             // 0000000048F0: D86C0140 09000051
	ds_read_b32 v10, v81 offset:384                            // 0000000048F8: D86C0180 0A000051
	ds_read_b32 v11, v81 offset:448                            // 000000004900: D86C01C0 0B000051
	ds_read_b32 v12, v81 offset:512                            // 000000004908: D86C0200 0C000051
	ds_read_b32 v13, v81 offset:576                            // 000000004910: D86C0240 0D000051
	ds_read_b32 v14, v81 offset:640                            // 000000004918: D86C0280 0E000051
	ds_read_b32 v15, v81 offset:704                            // 000000004920: D86C02C0 0F000051
	ds_read_b32 v16, v81 offset:768                            // 000000004928: D86C0300 10000051
	ds_read_b32 v17, v81 offset:832                            // 000000004930: D86C0340 11000051
	ds_read_b32 v18, v81 offset:896                            // 000000004938: D86C0380 12000051
	ds_read_b32 v19, v81 offset:960                            // 000000004940: D86C03C0 13000051
	s_waitcnt lgkmcnt(0)                                       // 000000004948: BF8CC07F
	s_barrier                                                  // 00000000494C: BF8A0000
	v_max3_f32 v78, |v4|, |v5|, v78                            // 000000004950: D1D3034E 053A0B04
	v_max3_f32 v78, |v6|, |v7|, v78                            // 000000004958: D1D3034E 053A0F06
	v_max3_f32 v78, |v8|, |v9|, v78                            // 000000004960: D1D3034E 053A1308
	v_max3_f32 v78, |v10|, |v11|, v78                          // 000000004968: D1D3034E 053A170A
	v_max3_f32 v78, |v12|, |v13|, v78                          // 000000004970: D1D3034E 053A1B0C
	v_max3_f32 v78, |v14|, |v15|, v78                          // 000000004978: D1D3034E 053A1F0E
	v_max3_f32 v78, |v16|, |v17|, v78                          // 000000004980: D1D3034E 053A2310
	v_max3_f32 v78, |v18|, |v19|, v78                          // 000000004988: D1D3034E 053A2712
	v_rcp_f32_e32 v78, v78                                     // 000000004990: 7E9C454E
	v_mov_b32_e32 v4, 0x43700000                               // 000000004994: 7E0802FF 43700000
	v_mul_f32_e32 v78, v4, v78                                 // 00000000499C: 0A9C9D04
	v_mov_b32_e32 v4, v78                                      // 0000000049A0: 7E08034E
	v_mov_b32_e32 v5, v4                                       // 0000000049A4: 7E0A0304
	v_pk_mul_f32 v[60:61], v[4:5], v[60:61]                    // 0000000049A8: D3B1403C 18027904
	v_pk_mul_f32 v[62:63], v[4:5], v[62:63]                    // 0000000049B0: D3B1403E 18027D04
	v_cvt_pk_fp8_f32 v60, v60, v61                             // 0000000049B8: D2A2003C 00027B3C
	v_cvt_pk_fp8_f32 v60, v62, v63 op_sel:[0,0,1]              // 0000000049C0: D2A2403C 00027F3E
	v_pk_mul_f32 v[68:69], v[4:5], v[68:69]                    // 0000000049C8: D3B14044 18028904
	v_pk_mul_f32 v[70:71], v[4:5], v[70:71]                    // 0000000049D0: D3B14046 18028D04
	v_cvt_pk_fp8_f32 v68, v68, v69                             // 0000000049D8: D2A20044 00028B44
	v_cvt_pk_fp8_f32 v68, v70, v71 op_sel:[0,0,1]              // 0000000049E0: D2A24044 00028F46
	v_rcp_f32_e32 v78, v78                                     // 0000000049E8: 7E9C454E
	v_mov_b32_e32 v77, 0x358637bd                              // 0000000049EC: 7E9A02FF 358637BD
	v_max3_f32 v77, |v48|, |v49|, v77                          // 0000000049F4: D1D3034D 05366330
	v_max3_f32 v77, |v50|, |v51|, v77                          // 0000000049FC: D1D3034D 05366732
	v_max3_f32 v77, |v56|, |v57|, v77                          // 000000004A04: D1D3034D 05367338
	v_max3_f32 v77, |v58|, |v59|, v77                          // 000000004A0C: D1D3034D 0536773A
	ds_write_b32 v80, v77                                      // 000000004A14: D81A0000 00004D50
	s_waitcnt lgkmcnt(0)                                       // 000000004A1C: BF8CC07F
	s_barrier                                                  // 000000004A20: BF8A0000
	ds_read_b32 v4, v81                                        // 000000004A24: D86C0000 04000051
	ds_read_b32 v5, v81 offset:64                              // 000000004A2C: D86C0040 05000051
	ds_read_b32 v6, v81 offset:128                             // 000000004A34: D86C0080 06000051
	ds_read_b32 v7, v81 offset:192                             // 000000004A3C: D86C00C0 07000051
	ds_read_b32 v8, v81 offset:256                             // 000000004A44: D86C0100 08000051
	ds_read_b32 v9, v81 offset:320                             // 000000004A4C: D86C0140 09000051
	ds_read_b32 v10, v81 offset:384                            // 000000004A54: D86C0180 0A000051
	ds_read_b32 v11, v81 offset:448                            // 000000004A5C: D86C01C0 0B000051
	ds_read_b32 v12, v81 offset:512                            // 000000004A64: D86C0200 0C000051
	ds_read_b32 v13, v81 offset:576                            // 000000004A6C: D86C0240 0D000051
	ds_read_b32 v14, v81 offset:640                            // 000000004A74: D86C0280 0E000051
	ds_read_b32 v15, v81 offset:704                            // 000000004A7C: D86C02C0 0F000051
	ds_read_b32 v16, v81 offset:768                            // 000000004A84: D86C0300 10000051
	ds_read_b32 v17, v81 offset:832                            // 000000004A8C: D86C0340 11000051
	ds_read_b32 v18, v81 offset:896                            // 000000004A94: D86C0380 12000051
	ds_read_b32 v19, v81 offset:960                            // 000000004A9C: D86C03C0 13000051
	s_waitcnt lgkmcnt(0)                                       // 000000004AA4: BF8CC07F
	s_barrier                                                  // 000000004AA8: BF8A0000
	v_max3_f32 v77, |v4|, |v5|, v77                            // 000000004AAC: D1D3034D 05360B04
	v_max3_f32 v77, |v6|, |v7|, v77                            // 000000004AB4: D1D3034D 05360F06
	v_max3_f32 v77, |v8|, |v9|, v77                            // 000000004ABC: D1D3034D 05361308
	v_max3_f32 v77, |v10|, |v11|, v77                          // 000000004AC4: D1D3034D 0536170A
	v_max3_f32 v77, |v12|, |v13|, v77                          // 000000004ACC: D1D3034D 05361B0C
	v_max3_f32 v77, |v14|, |v15|, v77                          // 000000004AD4: D1D3034D 05361F0E
	v_max3_f32 v77, |v16|, |v17|, v77                          // 000000004ADC: D1D3034D 05362310
	v_max3_f32 v77, |v18|, |v19|, v77                          // 000000004AE4: D1D3034D 05362712
	v_rcp_f32_e32 v77, v77                                     // 000000004AEC: 7E9A454D
	v_mov_b32_e32 v4, 0x43700000                               // 000000004AF0: 7E0802FF 43700000
	v_mul_f32_e32 v77, v4, v77                                 // 000000004AF8: 0A9A9B04
	v_mov_b32_e32 v4, v77                                      // 000000004AFC: 7E08034D
	v_mov_b32_e32 v5, v4                                       // 000000004B00: 7E0A0304
	v_pk_mul_f32 v[48:49], v[4:5], v[48:49]                    // 000000004B04: D3B14030 18026104
	v_pk_mul_f32 v[50:51], v[4:5], v[50:51]                    // 000000004B0C: D3B14032 18026504
	v_cvt_pk_fp8_f32 v48, v48, v49                             // 000000004B14: D2A20030 00026330
	v_cvt_pk_fp8_f32 v48, v50, v51 op_sel:[0,0,1]              // 000000004B1C: D2A24030 00026732
	v_pk_mul_f32 v[56:57], v[4:5], v[56:57]                    // 000000004B24: D3B14038 18027104
	v_pk_mul_f32 v[58:59], v[4:5], v[58:59]                    // 000000004B2C: D3B1403A 18027504
	v_cvt_pk_fp8_f32 v56, v56, v57                             // 000000004B34: D2A20038 00027338
	v_cvt_pk_fp8_f32 v56, v58, v59 op_sel:[0,0,1]              // 000000004B3C: D2A24038 0002773A
	v_rcp_f32_e32 v77, v77                                     // 000000004B44: 7E9A454D
	v_mov_b32_e32 v79, 0x358637bd                              // 000000004B48: 7E9E02FF 358637BD
	v_max3_f32 v79, |v64|, |v65|, v79                          // 000000004B50: D1D3034F 053E8340
	v_max3_f32 v79, |v66|, |v67|, v79                          // 000000004B58: D1D3034F 053E8742
	v_max3_f32 v79, |v72|, |v73|, v79                          // 000000004B60: D1D3034F 053E9348
	v_max3_f32 v79, |v74|, |v75|, v79                          // 000000004B68: D1D3034F 053E974A
	ds_write_b32 v80, v79                                      // 000000004B70: D81A0000 00004F50
	s_waitcnt lgkmcnt(0)                                       // 000000004B78: BF8CC07F
	s_barrier                                                  // 000000004B7C: BF8A0000
	ds_read_b32 v4, v81                                        // 000000004B80: D86C0000 04000051
	ds_read_b32 v5, v81 offset:64                              // 000000004B88: D86C0040 05000051
	ds_read_b32 v6, v81 offset:128                             // 000000004B90: D86C0080 06000051
	ds_read_b32 v7, v81 offset:192                             // 000000004B98: D86C00C0 07000051
	ds_read_b32 v8, v81 offset:256                             // 000000004BA0: D86C0100 08000051
	ds_read_b32 v9, v81 offset:320                             // 000000004BA8: D86C0140 09000051
	ds_read_b32 v10, v81 offset:384                            // 000000004BB0: D86C0180 0A000051
	ds_read_b32 v11, v81 offset:448                            // 000000004BB8: D86C01C0 0B000051
	ds_read_b32 v12, v81 offset:512                            // 000000004BC0: D86C0200 0C000051
	ds_read_b32 v13, v81 offset:576                            // 000000004BC8: D86C0240 0D000051
	ds_read_b32 v14, v81 offset:640                            // 000000004BD0: D86C0280 0E000051
	ds_read_b32 v15, v81 offset:704                            // 000000004BD8: D86C02C0 0F000051
	ds_read_b32 v16, v81 offset:768                            // 000000004BE0: D86C0300 10000051
	ds_read_b32 v17, v81 offset:832                            // 000000004BE8: D86C0340 11000051
	ds_read_b32 v18, v81 offset:896                            // 000000004BF0: D86C0380 12000051
	ds_read_b32 v19, v81 offset:960                            // 000000004BF8: D86C03C0 13000051
	s_waitcnt lgkmcnt(0)                                       // 000000004C00: BF8CC07F
	s_barrier                                                  // 000000004C04: BF8A0000
	v_max3_f32 v79, |v4|, |v5|, v79                            // 000000004C08: D1D3034F 053E0B04
	v_max3_f32 v79, |v6|, |v7|, v79                            // 000000004C10: D1D3034F 053E0F06
	v_max3_f32 v79, |v8|, |v9|, v79                            // 000000004C18: D1D3034F 053E1308
	v_max3_f32 v79, |v10|, |v11|, v79                          // 000000004C20: D1D3034F 053E170A
	v_max3_f32 v79, |v12|, |v13|, v79                          // 000000004C28: D1D3034F 053E1B0C
	v_max3_f32 v79, |v14|, |v15|, v79                          // 000000004C30: D1D3034F 053E1F0E
	v_max3_f32 v79, |v16|, |v17|, v79                          // 000000004C38: D1D3034F 053E2310
	v_max3_f32 v79, |v18|, |v19|, v79                          // 000000004C40: D1D3034F 053E2712
	v_rcp_f32_e32 v79, v79                                     // 000000004C48: 7E9E454F
	v_mov_b32_e32 v4, 0x43700000                               // 000000004C4C: 7E0802FF 43700000
	v_mul_f32_e32 v79, v4, v79                                 // 000000004C54: 0A9E9F04
	v_mov_b32_e32 v4, v79                                      // 000000004C58: 7E08034F
	v_mov_b32_e32 v5, v4                                       // 000000004C5C: 7E0A0304
	v_pk_mul_f32 v[64:65], v[4:5], v[64:65]                    // 000000004C60: D3B14040 18028104
	v_pk_mul_f32 v[66:67], v[4:5], v[66:67]                    // 000000004C68: D3B14042 18028504
	v_cvt_pk_fp8_f32 v64, v64, v65                             // 000000004C70: D2A20040 00028340
	v_cvt_pk_fp8_f32 v64, v66, v67 op_sel:[0,0,1]              // 000000004C78: D2A24040 00028742
	v_pk_mul_f32 v[72:73], v[4:5], v[72:73]                    // 000000004C80: D3B14048 18029104
	v_pk_mul_f32 v[74:75], v[4:5], v[74:75]                    // 000000004C88: D3B1404A 18029504
	v_cvt_pk_fp8_f32 v72, v72, v73                             // 000000004C90: D2A20048 00029348
	v_cvt_pk_fp8_f32 v72, v74, v75 op_sel:[0,0,1]              // 000000004C98: D2A24048 0002974A
	v_rcp_f32_e32 v79, v79                                     // 000000004CA0: 7E9E454F
	v_lshrrev_b32_e32 v4, 5, v0                                // 000000004CA4: 20080085
	v_mul_lo_u32 v20, 34, v4                                   // 000000004CA8: D2850014 000208A2
	v_and_b32_e32 v4, 31, v0                                   // 000000004CB0: 2608009F
	v_lshrrev_b32_e32 v5, 4, v4                                // 000000004CB4: 200A0884
	v_add_u32_e32 v20, v5, v20                                 // 000000004CB8: 68282905
	v_and_b32_e32 v4, 15, v0                                   // 000000004CBC: 2608008F
	v_mul_lo_u32 v5, 2, v4                                     // 000000004CC0: D2850005 00020882
	v_add_u32_e32 v20, v5, v20                                 // 000000004CC8: 68282905
	s_mul_i32 s60, s7, 0x44                                    // 000000004CCC: 923CFF07 00000044
	v_add_u32_e32 v20, s60, v20                                // 000000004CD4: 6828283C
	v_lshlrev_b32_e32 v20, 2, v20                              // 000000004CD8: 24282882
	ds_write_b32 v20, v44                                      // 000000004CDC: D81A0000 00002C14
	ds_write_b32 v20, v48 offset:4352                          // 000000004CE4: D81A1100 00003014
	ds_write_b32 v20, v52 offset:1088                          // 000000004CEC: D81A0440 00003414
	ds_write_b32 v20, v56 offset:5440                          // 000000004CF4: D81A1540 00003814
	ds_write_b32 v20, v60 offset:2176                          // 000000004CFC: D81A0880 00003C14
	ds_write_b32 v20, v64 offset:6528                          // 000000004D04: D81A1980 00004014
	ds_write_b32 v20, v68 offset:3264                          // 000000004D0C: D81A0CC0 00004414
	ds_write_b32 v20, v72 offset:7616                          // 000000004D14: D81A1DC0 00004814
	v_lshrrev_b32_e32 v4, 5, v0                                // 000000004D1C: 20080085
	v_xor_b32_e32 v5, 1, v4                                    // 000000004D20: 2A0A0881
	s_mul_i32 s60, s65, 1                                      // 000000004D24: 923C8141
	s_cmp_eq_u32 s88, 0                                        // 000000004D28: BF068058
	s_cselect_b32 s61, 1, 8                                    // 000000004D2C: 853D8881
	s_mul_i32 s60, s61, s60                                    // 000000004D30: 923C3C3D
	v_readlane_b32 s82, v3, 0                                  // 000000004D34: D2890052 00010103
	s_lshr_b32 s61, s82, 24                                    // 000000004D3C: 8F3D9852
	s_and_b32 s82, s82, 0xffffff                               // 000000004D40: 8652FF52 00FFFFFF
	s_mul_i32 s82, s82, s71                                    // 000000004D48: 92524752
	s_mul_i32 s61, s60, s61                                    // 000000004D4C: 923D3D3C
	s_add_u32 s82, s82, s61                                    // 000000004D50: 80523D52
	v_mul_lo_u32 v6, v5, s82                                   // 000000004D54: D2850006 0000A505
	v_readlane_b32 s82, v3, 1                                  // 000000004D5C: D2890052 00010303
	s_lshr_b32 s61, s82, 24                                    // 000000004D64: 8F3D9852
	s_and_b32 s82, s82, 0xffffff                               // 000000004D68: 8652FF52 00FFFFFF
	s_mul_i32 s82, s82, s71                                    // 000000004D70: 92524752
	s_mul_i32 s61, s60, s61                                    // 000000004D74: 923D3D3C
	s_add_u32 s82, s82, s61                                    // 000000004D78: 80523D52
	v_mul_lo_u32 v7, v4, s82                                   // 000000004D7C: D2850007 0000A504
	v_add_u32_e32 v36, v6, v7                                  // 000000004D84: 68480F06
	v_readlane_b32 s82, v3, 2                                  // 000000004D88: D2890052 00010503
	s_lshr_b32 s61, s82, 24                                    // 000000004D90: 8F3D9852
	s_and_b32 s82, s82, 0xffffff                               // 000000004D94: 8652FF52 00FFFFFF
	s_mul_i32 s82, s82, s71                                    // 000000004D9C: 92524752
	s_mul_i32 s61, s60, s61                                    // 000000004DA0: 923D3D3C
	s_add_u32 s82, s82, s61                                    // 000000004DA4: 80523D52
	v_mul_lo_u32 v6, v5, s82                                   // 000000004DA8: D2850006 0000A505
	v_readlane_b32 s82, v3, 3                                  // 000000004DB0: D2890052 00010703
	s_lshr_b32 s61, s82, 24                                    // 000000004DB8: 8F3D9852
	s_and_b32 s82, s82, 0xffffff                               // 000000004DBC: 8652FF52 00FFFFFF
	s_mul_i32 s82, s82, s71                                    // 000000004DC4: 92524752
	s_mul_i32 s61, s60, s61                                    // 000000004DC8: 923D3D3C
	s_add_u32 s82, s82, s61                                    // 000000004DCC: 80523D52
	v_mul_lo_u32 v7, v4, s82                                   // 000000004DD0: D2850007 0000A504
	v_add_u32_e32 v37, v6, v7                                  // 000000004DD8: 684A0F06
	v_readlane_b32 s82, v3, 4                                  // 000000004DDC: D2890052 00010903
	s_lshr_b32 s61, s82, 24                                    // 000000004DE4: 8F3D9852
	s_and_b32 s82, s82, 0xffffff                               // 000000004DE8: 8652FF52 00FFFFFF
	s_mul_i32 s82, s82, s71                                    // 000000004DF0: 92524752
	s_mul_i32 s61, s60, s61                                    // 000000004DF4: 923D3D3C
	s_add_u32 s82, s82, s61                                    // 000000004DF8: 80523D52
	v_mul_lo_u32 v6, v5, s82                                   // 000000004DFC: D2850006 0000A505
	v_readlane_b32 s82, v3, 5                                  // 000000004E04: D2890052 00010B03
	s_lshr_b32 s61, s82, 24                                    // 000000004E0C: 8F3D9852
	s_and_b32 s82, s82, 0xffffff                               // 000000004E10: 8652FF52 00FFFFFF
	s_mul_i32 s82, s82, s71                                    // 000000004E18: 92524752
	s_mul_i32 s61, s60, s61                                    // 000000004E1C: 923D3D3C
	s_add_u32 s82, s82, s61                                    // 000000004E20: 80523D52
	v_mul_lo_u32 v7, v4, s82                                   // 000000004E24: D2850007 0000A504
	v_add_u32_e32 v38, v6, v7                                  // 000000004E2C: 684C0F06
	v_readlane_b32 s82, v3, 6                                  // 000000004E30: D2890052 00010D03
	s_lshr_b32 s61, s82, 24                                    // 000000004E38: 8F3D9852
	s_and_b32 s82, s82, 0xffffff                               // 000000004E3C: 8652FF52 00FFFFFF
	s_mul_i32 s82, s82, s71                                    // 000000004E44: 92524752
	s_mul_i32 s61, s60, s61                                    // 000000004E48: 923D3D3C
	s_add_u32 s82, s82, s61                                    // 000000004E4C: 80523D52
	v_mul_lo_u32 v6, v5, s82                                   // 000000004E50: D2850006 0000A505
	v_readlane_b32 s82, v3, 7                                  // 000000004E58: D2890052 00010F03
	s_lshr_b32 s61, s82, 24                                    // 000000004E60: 8F3D9852
	s_and_b32 s82, s82, 0xffffff                               // 000000004E64: 8652FF52 00FFFFFF
	s_mul_i32 s82, s82, s71                                    // 000000004E6C: 92524752
	s_mul_i32 s61, s60, s61                                    // 000000004E70: 923D3D3C
	s_add_u32 s82, s82, s61                                    // 000000004E74: 80523D52
	v_mul_lo_u32 v7, v4, s82                                   // 000000004E78: D2850007 0000A504
	v_add_u32_e32 v39, v6, v7                                  // 000000004E80: 684E0F06
	v_and_b32_e32 v4, 31, v0                                   // 000000004E84: 2608009F
	v_lshrrev_b32_e32 v4, 1, v4                                // 000000004E88: 20080881
	s_cmp_eq_u32 s88, 0                                        // 000000004E8C: BF068058
	s_cselect_b32 s61, 2, 4                                    // 000000004E90: 853D8482
	v_mul_lo_u32 v4, v4, s61                                   // 000000004E94: D2850004 00007B04
	v_and_b32_e64 v5, v0, 1                                    // 000000004E9C: D1130005 00010300
	v_add_u32_e32 v4, v4, v5                                   // 000000004EA4: 68080B04
	v_lshlrev_b32_e32 v4, 2, v4                                // 000000004EA8: 24080882
	v_add_u32_e32 v36, v36, v4                                 // 000000004EAC: 68480924
	v_add_u32_e32 v37, v37, v4                                 // 000000004EB0: 684A0925
	v_add_u32_e32 v38, v38, v4                                 // 000000004EB4: 684C0926
	v_add_u32_e32 v39, v39, v4                                 // 000000004EB8: 684E0927
	s_waitcnt lgkmcnt(0)                                       // 000000004EBC: BF8CC07F
	s_barrier                                                  // 000000004EC0: BF8A0000
	ds_read_b32 v44, v21                                       // 000000004EC4: D86C0000 2C000015
	ds_read_b32 v45, v21 offset:64                             // 000000004ECC: D86C0040 2D000015
	ds_read_b32 v46, v21 offset:2176                           // 000000004ED4: D86C0880 2E000015
	ds_read_b32 v47, v21 offset:2240                           // 000000004EDC: D86C08C0 2F000015
	ds_read_b32 v48, v21 offset:4352                           // 000000004EE4: D86C1100 30000015
	ds_read_b32 v49, v21 offset:4416                           // 000000004EEC: D86C1140 31000015
	ds_read_b32 v50, v21 offset:6528                           // 000000004EF4: D86C1980 32000015
	ds_read_b32 v51, v21 offset:6592                           // 000000004EFC: D86C19C0 33000015
	s_waitcnt lgkmcnt(0)                                       // 000000004F04: BF8CC07F
	s_mov_b32 s36, -1                                          // 000000004F08: BEA400C1
	s_mov_b32 s37, -1                                          // 000000004F0C: BEA500C1
	v_mov_b32_e32 v7, 0                                        // 000000004F10: 7E0E0280
	s_or_b32 s9, s9, 0x40000                                   // 000000004F14: 8709FF09 00040000
	s_mov_b64 exec, s[36:37]                                   // 000000004F1C: BEFE0124
	v_mov_b32_e32 v6, v36                                      // 000000004F20: 7E0C0324
	s_mov_b64 s[60:61], 0                                      // 000000004F24: BEBC0180
	v_readlane_b32 s82, v3, 0                                  // 000000004F28: D2890052 00010103
	s_and_b32 s82, s82, 0xffffff                               // 000000004F30: 8652FF52 00FFFFFF
	s_cmp_lt_u32 s82, s66                                      // 000000004F38: BF0A4252
	s_cselect_b32 s20, s36, s60                                // 000000004F3C: 85143C24
	v_readlane_b32 s82, v3, 1                                  // 000000004F40: D2890052 00010303
	s_and_b32 s82, s82, 0xffffff                               // 000000004F48: 8652FF52 00FFFFFF
	s_cmp_lt_u32 s82, s66                                      // 000000004F50: BF0A4252
	s_cselect_b32 s21, s36, s60                                // 000000004F54: 85153C24
	s_mov_b64 exec, s[20:21]                                   // 000000004F58: BEFE0114
	buffer_store_dword v44, v6, s[8:11], 0 offen               // 000000004F5C: E0701000 80022C06
	buffer_store_dword v46, v6, s[8:11], 0 offen offset:128    // 000000004F64: E0701080 80022E06
	s_mov_b64 exec, s[36:37]                                   // 000000004F6C: BEFE0124
	v_mov_b32_e32 v6, v37                                      // 000000004F70: 7E0C0325
	s_mov_b64 s[60:61], 0                                      // 000000004F74: BEBC0180
	v_readlane_b32 s82, v3, 2                                  // 000000004F78: D2890052 00010503
	s_and_b32 s82, s82, 0xffffff                               // 000000004F80: 8652FF52 00FFFFFF
	s_cmp_lt_u32 s82, s66                                      // 000000004F88: BF0A4252
	s_cselect_b32 s20, s36, s60                                // 000000004F8C: 85143C24
	v_readlane_b32 s82, v3, 3                                  // 000000004F90: D2890052 00010703
	s_and_b32 s82, s82, 0xffffff                               // 000000004F98: 8652FF52 00FFFFFF
	s_cmp_lt_u32 s82, s66                                      // 000000004FA0: BF0A4252
	s_cselect_b32 s21, s36, s60                                // 000000004FA4: 85153C24
	s_mov_b64 exec, s[20:21]                                   // 000000004FA8: BEFE0114
	buffer_store_dword v45, v6, s[8:11], 0 offen               // 000000004FAC: E0701000 80022D06
	buffer_store_dword v47, v6, s[8:11], 0 offen offset:128    // 000000004FB4: E0701080 80022F06
	s_mov_b64 exec, s[36:37]                                   // 000000004FBC: BEFE0124
	v_mov_b32_e32 v6, v38                                      // 000000004FC0: 7E0C0326
	s_mov_b64 s[60:61], 0                                      // 000000004FC4: BEBC0180
	v_readlane_b32 s82, v3, 4                                  // 000000004FC8: D2890052 00010903
	s_and_b32 s82, s82, 0xffffff                               // 000000004FD0: 8652FF52 00FFFFFF
	s_cmp_lt_u32 s82, s66                                      // 000000004FD8: BF0A4252
	s_cselect_b32 s20, s36, s60                                // 000000004FDC: 85143C24
	v_readlane_b32 s82, v3, 5                                  // 000000004FE0: D2890052 00010B03
	s_and_b32 s82, s82, 0xffffff                               // 000000004FE8: 8652FF52 00FFFFFF
	s_cmp_lt_u32 s82, s66                                      // 000000004FF0: BF0A4252
	s_cselect_b32 s21, s36, s60                                // 000000004FF4: 85153C24
	s_mov_b64 exec, s[20:21]                                   // 000000004FF8: BEFE0114
	buffer_store_dword v48, v6, s[8:11], 0 offen               // 000000004FFC: E0701000 80023006
	buffer_store_dword v50, v6, s[8:11], 0 offen offset:128    // 000000005004: E0701080 80023206
	s_mov_b64 exec, s[36:37]                                   // 00000000500C: BEFE0124
	v_mov_b32_e32 v6, v39                                      // 000000005010: 7E0C0327
	s_mov_b64 s[60:61], 0                                      // 000000005014: BEBC0180
	v_readlane_b32 s82, v3, 6                                  // 000000005018: D2890052 00010D03
	s_and_b32 s82, s82, 0xffffff                               // 000000005020: 8652FF52 00FFFFFF
	s_cmp_lt_u32 s82, s66                                      // 000000005028: BF0A4252
	s_cselect_b32 s20, s36, s60                                // 00000000502C: 85143C24
	v_readlane_b32 s82, v3, 7                                  // 000000005030: D2890052 00010F03
	s_and_b32 s82, s82, 0xffffff                               // 000000005038: 8652FF52 00FFFFFF
	s_cmp_lt_u32 s82, s66                                      // 000000005040: BF0A4252
	s_cselect_b32 s21, s36, s60                                // 000000005044: 85153C24
	s_mov_b64 exec, s[20:21]                                   // 000000005048: BEFE0114
	buffer_store_dword v49, v6, s[8:11], 0 offen               // 00000000504C: E0701000 80023106
	buffer_store_dword v51, v6, s[8:11], 0 offen offset:128    // 000000005054: E0701080 80023306
	s_mov_b64 exec, s[36:37]                                   // 00000000505C: BEFE0124
	s_cmp_eq_u32 s7, 0                                         // 000000005060: BF068007
	s_cbranch_scc0 label_1710                                  // 000000005064: BF840D73
	s_waitcnt vmcnt(8)                                         // 000000005068: BF8C0F78
	s_mov_b32 s8, s90                                          // 00000000506C: BE88005A
	s_mov_b32 s9, s91                                          // 000000005070: BE89005B
	s_mul_i32 s60, s66, s71                                    // 000000005074: 923C4742
	s_add_u32 s8, s60, s8                                      // 000000005078: 8008083C
	s_addc_u32 s9, 0, s9                                       // 00000000507C: 82090980
	s_lshr_b32 s71, s71, 5                                     // 000000005080: 8F478547
	s_mul_i32 s60, s66, s71                                    // 000000005084: 923C4742
	s_mov_b32 s10, s60                                         // 000000005088: BE8A003C
	s_lshr_b32 s61, s65, 5                                     // 00000000508C: 8F3D8541
	s_mul_i32 s60, s2, 8                                       // 000000005090: 923C8802
	v_lshrrev_b32_e32 v4, 24, v28                              // 000000005094: 20083898
	v_mul_lo_u32 v4, s61, v4                                   // 000000005098: D2850004 0002083D
	v_and_b32_e32 v28, 0xffffff, v28                           // 0000000050A0: 263838FF 00FFFFFF
	v_mul_lo_u32 v28, s71, v28                                 // 0000000050A8: D285001C 00023847
	v_add_u32_e32 v28, v4, v28                                 // 0000000050B0: 68383904
	v_add_u32_e32 v28, s60, v28                                // 0000000050B4: 6838383C
	v_lshrrev_b32_e32 v4, 24, v29                              // 0000000050B8: 20083A98
	v_mul_lo_u32 v4, s61, v4                                   // 0000000050BC: D2850004 0002083D
	v_and_b32_e32 v29, 0xffffff, v29                           // 0000000050C4: 263A3AFF 00FFFFFF
	v_mul_lo_u32 v29, s71, v29                                 // 0000000050CC: D285001D 00023A47
	v_add_u32_e32 v29, v4, v29                                 // 0000000050D4: 683A3B04
	v_add_u32_e32 v29, s60, v29                                // 0000000050D8: 683A3A3C
	s_mov_b64 exec, 0xffff                                     // 0000000050DC: BEFE01FF 0000FFFF
	buffer_store_dword v76, v28, s[8:11], 0 offen              // 0000000050E4: E0701000 80024C1C
	buffer_store_dword v78, v28, s[8:11], 0 offen offset:4     // 0000000050EC: E0701004 80024E1C
	buffer_store_dword v77, v29, s[8:11], 0 offen              // 0000000050F4: E0701000 80024D1D
	buffer_store_dword v79, v29, s[8:11], 0 offen offset:4     // 0000000050FC: E0701004 80024F1D
	s_mov_b64 exec, s[36:37]                                   // 000000005104: BEFE0124
	s_branch label_1710                                        // 000000005108: BF820D4A

000000000000510c <label_09C3>:
	ds_write_b64 v20, v[44:45]                                 // 00000000510C: D89A0000 00002C14
	ds_write_b64 v20, v[48:49] offset:8704                     // 000000005114: D89A2200 00003014
	ds_write_b64 v20, v[52:53] offset:2176                     // 00000000511C: D89A0880 00003414
	ds_write_b64 v20, v[56:57] offset:10880                    // 000000005124: D89A2A80 00003814
	ds_write_b64 v20, v[60:61] offset:4352                     // 00000000512C: D89A1100 00003C14
	ds_write_b64 v20, v[64:65] offset:13056                    // 000000005134: D89A3300 00004014
	ds_write_b64 v20, v[68:69] offset:6528                     // 00000000513C: D89A1980 00004414
	ds_write_b64 v20, v[72:73] offset:15232                    // 000000005144: D89A3B80 00004814
	v_lshrrev_b32_e32 v4, 5, v0                                // 00000000514C: 20080085
	v_xor_b32_e32 v5, 1, v4                                    // 000000005150: 2A0A0881
	s_mul_i32 s60, s65, 1                                      // 000000005154: 923C8141
	s_cmp_eq_u32 s88, 0                                        // 000000005158: BF068058
	s_cselect_b32 s61, 1, 8                                    // 00000000515C: 853D8881
	s_mul_i32 s60, s61, s60                                    // 000000005160: 923C3C3D
	v_readlane_b32 s82, v3, 0                                  // 000000005164: D2890052 00010103
	s_lshr_b32 s61, s82, 24                                    // 00000000516C: 8F3D9852
	s_and_b32 s82, s82, 0xffffff                               // 000000005170: 8652FF52 00FFFFFF
	s_mul_i32 s82, s82, s71                                    // 000000005178: 92524752
	s_mul_i32 s61, s60, s61                                    // 00000000517C: 923D3D3C
	s_add_u32 s82, s82, s61                                    // 000000005180: 80523D52
	v_mul_lo_u32 v6, v5, s82                                   // 000000005184: D2850006 0000A505
	v_readlane_b32 s82, v3, 1                                  // 00000000518C: D2890052 00010303
	s_lshr_b32 s61, s82, 24                                    // 000000005194: 8F3D9852
	s_and_b32 s82, s82, 0xffffff                               // 000000005198: 8652FF52 00FFFFFF
	s_mul_i32 s82, s82, s71                                    // 0000000051A0: 92524752
	s_mul_i32 s61, s60, s61                                    // 0000000051A4: 923D3D3C
	s_add_u32 s82, s82, s61                                    // 0000000051A8: 80523D52
	v_mul_lo_u32 v7, v4, s82                                   // 0000000051AC: D2850007 0000A504
	v_add_u32_e32 v36, v6, v7                                  // 0000000051B4: 68480F06
	v_readlane_b32 s82, v3, 2                                  // 0000000051B8: D2890052 00010503
	s_lshr_b32 s61, s82, 24                                    // 0000000051C0: 8F3D9852
	s_and_b32 s82, s82, 0xffffff                               // 0000000051C4: 8652FF52 00FFFFFF
	s_mul_i32 s82, s82, s71                                    // 0000000051CC: 92524752
	s_mul_i32 s61, s60, s61                                    // 0000000051D0: 923D3D3C
	s_add_u32 s82, s82, s61                                    // 0000000051D4: 80523D52
	v_mul_lo_u32 v6, v5, s82                                   // 0000000051D8: D2850006 0000A505
	v_readlane_b32 s82, v3, 3                                  // 0000000051E0: D2890052 00010703
	s_lshr_b32 s61, s82, 24                                    // 0000000051E8: 8F3D9852
	s_and_b32 s82, s82, 0xffffff                               // 0000000051EC: 8652FF52 00FFFFFF
	s_mul_i32 s82, s82, s71                                    // 0000000051F4: 92524752
	s_mul_i32 s61, s60, s61                                    // 0000000051F8: 923D3D3C
	s_add_u32 s82, s82, s61                                    // 0000000051FC: 80523D52
	v_mul_lo_u32 v7, v4, s82                                   // 000000005200: D2850007 0000A504
	v_add_u32_e32 v37, v6, v7                                  // 000000005208: 684A0F06
	v_readlane_b32 s82, v3, 4                                  // 00000000520C: D2890052 00010903
	s_lshr_b32 s61, s82, 24                                    // 000000005214: 8F3D9852
	s_and_b32 s82, s82, 0xffffff                               // 000000005218: 8652FF52 00FFFFFF
	s_mul_i32 s82, s82, s71                                    // 000000005220: 92524752
	s_mul_i32 s61, s60, s61                                    // 000000005224: 923D3D3C
	s_add_u32 s82, s82, s61                                    // 000000005228: 80523D52
	v_mul_lo_u32 v6, v5, s82                                   // 00000000522C: D2850006 0000A505
	v_readlane_b32 s82, v3, 5                                  // 000000005234: D2890052 00010B03
	s_lshr_b32 s61, s82, 24                                    // 00000000523C: 8F3D9852
	s_and_b32 s82, s82, 0xffffff                               // 000000005240: 8652FF52 00FFFFFF
	s_mul_i32 s82, s82, s71                                    // 000000005248: 92524752
	s_mul_i32 s61, s60, s61                                    // 00000000524C: 923D3D3C
	s_add_u32 s82, s82, s61                                    // 000000005250: 80523D52
	v_mul_lo_u32 v7, v4, s82                                   // 000000005254: D2850007 0000A504
	v_add_u32_e32 v38, v6, v7                                  // 00000000525C: 684C0F06
	v_readlane_b32 s82, v3, 6                                  // 000000005260: D2890052 00010D03
	s_lshr_b32 s61, s82, 24                                    // 000000005268: 8F3D9852
	s_and_b32 s82, s82, 0xffffff                               // 00000000526C: 8652FF52 00FFFFFF
	s_mul_i32 s82, s82, s71                                    // 000000005274: 92524752
	s_mul_i32 s61, s60, s61                                    // 000000005278: 923D3D3C
	s_add_u32 s82, s82, s61                                    // 00000000527C: 80523D52
	v_mul_lo_u32 v6, v5, s82                                   // 000000005280: D2850006 0000A505
	v_readlane_b32 s82, v3, 7                                  // 000000005288: D2890052 00010F03
	s_lshr_b32 s61, s82, 24                                    // 000000005290: 8F3D9852
	s_and_b32 s82, s82, 0xffffff                               // 000000005294: 8652FF52 00FFFFFF
	s_mul_i32 s82, s82, s71                                    // 00000000529C: 92524752
	s_mul_i32 s61, s60, s61                                    // 0000000052A0: 923D3D3C
	s_add_u32 s82, s82, s61                                    // 0000000052A4: 80523D52
	v_mul_lo_u32 v7, v4, s82                                   // 0000000052A8: D2850007 0000A504
	v_add_u32_e32 v39, v6, v7                                  // 0000000052B0: 684E0F06
	v_and_b32_e32 v4, 31, v0                                   // 0000000052B4: 2608009F
	v_lshrrev_b32_e32 v4, 1, v4                                // 0000000052B8: 20080881
	s_cmp_eq_u32 s88, 0                                        // 0000000052BC: BF068058
	s_cselect_b32 s61, 2, 4                                    // 0000000052C0: 853D8482
	v_mul_lo_u32 v4, v4, s61                                   // 0000000052C4: D2850004 00007B04
	v_and_b32_e64 v5, v0, 1                                    // 0000000052CC: D1130005 00010300
	v_add_u32_e32 v4, v4, v5                                   // 0000000052D4: 68080B04
	v_lshlrev_b32_e32 v4, 2, v4                                // 0000000052D8: 24080882
	v_add_u32_e32 v36, v36, v4                                 // 0000000052DC: 68480924
	v_add_u32_e32 v37, v37, v4                                 // 0000000052E0: 684A0925
	v_add_u32_e32 v38, v38, v4                                 // 0000000052E4: 684C0926
	v_add_u32_e32 v39, v39, v4                                 // 0000000052E8: 684E0927
	s_waitcnt lgkmcnt(0)                                       // 0000000052EC: BF8CC07F
	s_barrier                                                  // 0000000052F0: BF8A0000
	ds_read_b32 v44, v21                                       // 0000000052F4: D86C0000 2C000015
	ds_read_b32 v45, v21 offset:64                             // 0000000052FC: D86C0040 2D000015
	ds_read_b32 v48, v21 offset:2176                           // 000000005304: D86C0880 30000015
	ds_read_b32 v49, v21 offset:2240                           // 00000000530C: D86C08C0 31000015
	ds_read_b32 v52, v21 offset:4352                           // 000000005314: D86C1100 34000015
	ds_read_b32 v53, v21 offset:4416                           // 00000000531C: D86C1140 35000015
	ds_read_b32 v56, v21 offset:6528                           // 000000005324: D86C1980 38000015
	ds_read_b32 v57, v21 offset:6592                           // 00000000532C: D86C19C0 39000015
	ds_read_b32 v60, v21 offset:8704                           // 000000005334: D86C2200 3C000015
	ds_read_b32 v61, v21 offset:8768                           // 00000000533C: D86C2240 3D000015
	ds_read_b32 v64, v21 offset:10880                          // 000000005344: D86C2A80 40000015
	ds_read_b32 v65, v21 offset:10944                          // 00000000534C: D86C2AC0 41000015
	ds_read_b32 v68, v21 offset:13056                          // 000000005354: D86C3300 44000015
	ds_read_b32 v69, v21 offset:13120                          // 00000000535C: D86C3340 45000015
	ds_read_b32 v72, v21 offset:15232                          // 000000005364: D86C3B80 48000015
	ds_read_b32 v73, v21 offset:15296                          // 00000000536C: D86C3BC0 49000015
	s_waitcnt lgkmcnt(0)                                       // 000000005374: BF8CC07F
	s_mov_b32 s36, -1                                          // 000000005378: BEA400C1
	s_mov_b32 s37, -1                                          // 00000000537C: BEA500C1
	v_mov_b32_e32 v7, 0                                        // 000000005380: 7E0E0280
	s_mov_b64 exec, s[36:37]                                   // 000000005384: BEFE0124
	v_mov_b32_e32 v6, v36                                      // 000000005388: 7E0C0324
	s_mov_b64 s[60:61], 0                                      // 00000000538C: BEBC0180
	v_readlane_b32 s82, v3, 0                                  // 000000005390: D2890052 00010103
	s_and_b32 s82, s82, 0xffffff                               // 000000005398: 8652FF52 00FFFFFF
	s_cmp_lt_u32 s82, s66                                      // 0000000053A0: BF0A4252
	s_cselect_b32 s20, s36, s60                                // 0000000053A4: 85143C24
	v_readlane_b32 s82, v3, 1                                  // 0000000053A8: D2890052 00010303
	s_and_b32 s82, s82, 0xffffff                               // 0000000053B0: 8652FF52 00FFFFFF
	s_cmp_lt_u32 s82, s66                                      // 0000000053B8: BF0A4252
	s_cselect_b32 s21, s36, s60                                // 0000000053BC: 85153C24
	s_mov_b64 exec, s[20:21]                                   // 0000000053C0: BEFE0114
	global_atomic_add_f32 v6, v44, s[8:9]                      // 0000000053C4: DD348000 00082C06
	global_atomic_add_f32 v6, v48, s[8:9] offset:256           // 0000000053CC: DD348100 00083006
	global_atomic_add_f32 v6, v52, s[8:9] offset:512           // 0000000053D4: DD348200 00083406
	global_atomic_add_f32 v6, v56, s[8:9] offset:768           // 0000000053DC: DD348300 00083806
	s_mov_b64 exec, s[36:37]                                   // 0000000053E4: BEFE0124
	v_mov_b32_e32 v6, v37                                      // 0000000053E8: 7E0C0325
	s_mov_b64 s[60:61], 0                                      // 0000000053EC: BEBC0180
	v_readlane_b32 s82, v3, 2                                  // 0000000053F0: D2890052 00010503
	s_and_b32 s82, s82, 0xffffff                               // 0000000053F8: 8652FF52 00FFFFFF
	s_cmp_lt_u32 s82, s66                                      // 000000005400: BF0A4252
	s_cselect_b32 s20, s36, s60                                // 000000005404: 85143C24
	v_readlane_b32 s82, v3, 3                                  // 000000005408: D2890052 00010703
	s_and_b32 s82, s82, 0xffffff                               // 000000005410: 8652FF52 00FFFFFF
	s_cmp_lt_u32 s82, s66                                      // 000000005418: BF0A4252
	s_cselect_b32 s21, s36, s60                                // 00000000541C: 85153C24
	s_mov_b64 exec, s[20:21]                                   // 000000005420: BEFE0114
	global_atomic_add_f32 v6, v45, s[8:9]                      // 000000005424: DD348000 00082D06
	global_atomic_add_f32 v6, v49, s[8:9] offset:256           // 00000000542C: DD348100 00083106
	global_atomic_add_f32 v6, v53, s[8:9] offset:512           // 000000005434: DD348200 00083506
	global_atomic_add_f32 v6, v57, s[8:9] offset:768           // 00000000543C: DD348300 00083906
	s_mov_b64 exec, s[36:37]                                   // 000000005444: BEFE0124
	v_mov_b32_e32 v6, v38                                      // 000000005448: 7E0C0326
	s_mov_b64 s[60:61], 0                                      // 00000000544C: BEBC0180
	v_readlane_b32 s82, v3, 4                                  // 000000005450: D2890052 00010903
	s_and_b32 s82, s82, 0xffffff                               // 000000005458: 8652FF52 00FFFFFF
	s_cmp_lt_u32 s82, s66                                      // 000000005460: BF0A4252
	s_cselect_b32 s20, s36, s60                                // 000000005464: 85143C24
	v_readlane_b32 s82, v3, 5                                  // 000000005468: D2890052 00010B03
	s_and_b32 s82, s82, 0xffffff                               // 000000005470: 8652FF52 00FFFFFF
	s_cmp_lt_u32 s82, s66                                      // 000000005478: BF0A4252
	s_cselect_b32 s21, s36, s60                                // 00000000547C: 85153C24
	s_mov_b64 exec, s[20:21]                                   // 000000005480: BEFE0114
	global_atomic_add_f32 v6, v60, s[8:9]                      // 000000005484: DD348000 00083C06
	global_atomic_add_f32 v6, v64, s[8:9] offset:256           // 00000000548C: DD348100 00084006
	global_atomic_add_f32 v6, v68, s[8:9] offset:512           // 000000005494: DD348200 00084406
	global_atomic_add_f32 v6, v72, s[8:9] offset:768           // 00000000549C: DD348300 00084806
	s_mov_b64 exec, s[36:37]                                   // 0000000054A4: BEFE0124
	v_mov_b32_e32 v6, v39                                      // 0000000054A8: 7E0C0327
	s_mov_b64 s[60:61], 0                                      // 0000000054AC: BEBC0180
	v_readlane_b32 s82, v3, 6                                  // 0000000054B0: D2890052 00010D03
	s_and_b32 s82, s82, 0xffffff                               // 0000000054B8: 8652FF52 00FFFFFF
	s_cmp_lt_u32 s82, s66                                      // 0000000054C0: BF0A4252
	s_cselect_b32 s20, s36, s60                                // 0000000054C4: 85143C24
	v_readlane_b32 s82, v3, 7                                  // 0000000054C8: D2890052 00010F03
	s_and_b32 s82, s82, 0xffffff                               // 0000000054D0: 8652FF52 00FFFFFF
	s_cmp_lt_u32 s82, s66                                      // 0000000054D8: BF0A4252
	s_cselect_b32 s21, s36, s60                                // 0000000054DC: 85153C24
	s_mov_b64 exec, s[20:21]                                   // 0000000054E0: BEFE0114
	global_atomic_add_f32 v6, v61, s[8:9]                      // 0000000054E4: DD348000 00083D06
	global_atomic_add_f32 v6, v65, s[8:9] offset:256           // 0000000054EC: DD348100 00084106
	global_atomic_add_f32 v6, v69, s[8:9] offset:512           // 0000000054F4: DD348200 00084506
	global_atomic_add_f32 v6, v73, s[8:9] offset:768           // 0000000054FC: DD348300 00084906
	s_mov_b64 exec, s[36:37]                                   // 000000005504: BEFE0124
	ds_write_b64 v20, v[46:47]                                 // 000000005508: D89A0000 00002E14
	ds_write_b64 v20, v[50:51] offset:8704                     // 000000005510: D89A2200 00003214
	ds_write_b64 v20, v[54:55] offset:2176                     // 000000005518: D89A0880 00003614
	ds_write_b64 v20, v[58:59] offset:10880                    // 000000005520: D89A2A80 00003A14
	ds_write_b64 v20, v[62:63] offset:4352                     // 000000005528: D89A1100 00003E14
	ds_write_b64 v20, v[66:67] offset:13056                    // 000000005530: D89A3300 00004214
	ds_write_b64 v20, v[70:71] offset:6528                     // 000000005538: D89A1980 00004614
	ds_write_b64 v20, v[74:75] offset:15232                    // 000000005540: D89A3B80 00004A14
	s_waitcnt lgkmcnt(0)                                       // 000000005548: BF8CC07F
	s_barrier                                                  // 00000000554C: BF8A0000
	ds_read_b32 v46, v21                                       // 000000005550: D86C0000 2E000015
	ds_read_b32 v47, v21 offset:64                             // 000000005558: D86C0040 2F000015
	ds_read_b32 v50, v21 offset:2176                           // 000000005560: D86C0880 32000015
	ds_read_b32 v51, v21 offset:2240                           // 000000005568: D86C08C0 33000015
	ds_read_b32 v54, v21 offset:4352                           // 000000005570: D86C1100 36000015
	ds_read_b32 v55, v21 offset:4416                           // 000000005578: D86C1140 37000015
	ds_read_b32 v58, v21 offset:6528                           // 000000005580: D86C1980 3A000015
	ds_read_b32 v59, v21 offset:6592                           // 000000005588: D86C19C0 3B000015
	ds_read_b32 v62, v21 offset:8704                           // 000000005590: D86C2200 3E000015
	ds_read_b32 v63, v21 offset:8768                           // 000000005598: D86C2240 3F000015
	ds_read_b32 v66, v21 offset:10880                          // 0000000055A0: D86C2A80 42000015
	ds_read_b32 v67, v21 offset:10944                          // 0000000055A8: D86C2AC0 43000015
	ds_read_b32 v70, v21 offset:13056                          // 0000000055B0: D86C3300 46000015
	ds_read_b32 v71, v21 offset:13120                          // 0000000055B8: D86C3340 47000015
	ds_read_b32 v74, v21 offset:15232                          // 0000000055C0: D86C3B80 4A000015
	ds_read_b32 v75, v21 offset:15296                          // 0000000055C8: D86C3BC0 4B000015
	s_waitcnt lgkmcnt(0)                                       // 0000000055D0: BF8CC07F
	v_mov_b32_e32 v7, 0                                        // 0000000055D4: 7E0E0280
	s_mov_b64 exec, s[36:37]                                   // 0000000055D8: BEFE0124
	v_mov_b32_e32 v6, v36                                      // 0000000055DC: 7E0C0324
	s_mov_b64 s[60:61], 0                                      // 0000000055E0: BEBC0180
	v_readlane_b32 s82, v3, 0                                  // 0000000055E4: D2890052 00010103
	s_and_b32 s82, s82, 0xffffff                               // 0000000055EC: 8652FF52 00FFFFFF
	s_cmp_lt_u32 s82, s66                                      // 0000000055F4: BF0A4252
	s_cselect_b32 s20, s36, s60                                // 0000000055F8: 85143C24
	v_readlane_b32 s82, v3, 1                                  // 0000000055FC: D2890052 00010303
	s_and_b32 s82, s82, 0xffffff                               // 000000005604: 8652FF52 00FFFFFF
	s_cmp_lt_u32 s82, s66                                      // 00000000560C: BF0A4252
	s_cselect_b32 s21, s36, s60                                // 000000005610: 85153C24
	s_mov_b64 exec, s[20:21]                                   // 000000005614: BEFE0114
	global_atomic_add_f32 v6, v46, s[8:9] offset:8             // 000000005618: DD348008 00082E06
	global_atomic_add_f32 v6, v50, s[8:9] offset:264           // 000000005620: DD348108 00083206
	global_atomic_add_f32 v6, v54, s[8:9] offset:520           // 000000005628: DD348208 00083606
	global_atomic_add_f32 v6, v58, s[8:9] offset:776           // 000000005630: DD348308 00083A06
	s_mov_b64 exec, s[36:37]                                   // 000000005638: BEFE0124
	v_mov_b32_e32 v6, v37                                      // 00000000563C: 7E0C0325
	s_mov_b64 s[60:61], 0                                      // 000000005640: BEBC0180
	v_readlane_b32 s82, v3, 2                                  // 000000005644: D2890052 00010503
	s_and_b32 s82, s82, 0xffffff                               // 00000000564C: 8652FF52 00FFFFFF
	s_cmp_lt_u32 s82, s66                                      // 000000005654: BF0A4252
	s_cselect_b32 s20, s36, s60                                // 000000005658: 85143C24
	v_readlane_b32 s82, v3, 3                                  // 00000000565C: D2890052 00010703
	s_and_b32 s82, s82, 0xffffff                               // 000000005664: 8652FF52 00FFFFFF
	s_cmp_lt_u32 s82, s66                                      // 00000000566C: BF0A4252
	s_cselect_b32 s21, s36, s60                                // 000000005670: 85153C24
	s_mov_b64 exec, s[20:21]                                   // 000000005674: BEFE0114
	global_atomic_add_f32 v6, v47, s[8:9] offset:8             // 000000005678: DD348008 00082F06
	global_atomic_add_f32 v6, v51, s[8:9] offset:264           // 000000005680: DD348108 00083306
	global_atomic_add_f32 v6, v55, s[8:9] offset:520           // 000000005688: DD348208 00083706
	global_atomic_add_f32 v6, v59, s[8:9] offset:776           // 000000005690: DD348308 00083B06
	s_mov_b64 exec, s[36:37]                                   // 000000005698: BEFE0124
	v_mov_b32_e32 v6, v38                                      // 00000000569C: 7E0C0326
	s_mov_b64 s[60:61], 0                                      // 0000000056A0: BEBC0180
	v_readlane_b32 s82, v3, 4                                  // 0000000056A4: D2890052 00010903
	s_and_b32 s82, s82, 0xffffff                               // 0000000056AC: 8652FF52 00FFFFFF
	s_cmp_lt_u32 s82, s66                                      // 0000000056B4: BF0A4252
	s_cselect_b32 s20, s36, s60                                // 0000000056B8: 85143C24
	v_readlane_b32 s82, v3, 5                                  // 0000000056BC: D2890052 00010B03
	s_and_b32 s82, s82, 0xffffff                               // 0000000056C4: 8652FF52 00FFFFFF
	s_cmp_lt_u32 s82, s66                                      // 0000000056CC: BF0A4252
	s_cselect_b32 s21, s36, s60                                // 0000000056D0: 85153C24
	s_mov_b64 exec, s[20:21]                                   // 0000000056D4: BEFE0114
	global_atomic_add_f32 v6, v62, s[8:9] offset:8             // 0000000056D8: DD348008 00083E06
	global_atomic_add_f32 v6, v66, s[8:9] offset:264           // 0000000056E0: DD348108 00084206
	global_atomic_add_f32 v6, v70, s[8:9] offset:520           // 0000000056E8: DD348208 00084606
	global_atomic_add_f32 v6, v74, s[8:9] offset:776           // 0000000056F0: DD348308 00084A06
	s_mov_b64 exec, s[36:37]                                   // 0000000056F8: BEFE0124
	v_mov_b32_e32 v6, v39                                      // 0000000056FC: 7E0C0327
	s_mov_b64 s[60:61], 0                                      // 000000005700: BEBC0180
	v_readlane_b32 s82, v3, 6                                  // 000000005704: D2890052 00010D03
	s_and_b32 s82, s82, 0xffffff                               // 00000000570C: 8652FF52 00FFFFFF
	s_cmp_lt_u32 s82, s66                                      // 000000005714: BF0A4252
	s_cselect_b32 s20, s36, s60                                // 000000005718: 85143C24
	v_readlane_b32 s82, v3, 7                                  // 00000000571C: D2890052 00010F03
	s_and_b32 s82, s82, 0xffffff                               // 000000005724: 8652FF52 00FFFFFF
	s_cmp_lt_u32 s82, s66                                      // 00000000572C: BF0A4252
	s_cselect_b32 s21, s36, s60                                // 000000005730: 85153C24
	s_mov_b64 exec, s[20:21]                                   // 000000005734: BEFE0114
	global_atomic_add_f32 v6, v63, s[8:9] offset:8             // 000000005738: DD348008 00083F06
	global_atomic_add_f32 v6, v67, s[8:9] offset:264           // 000000005740: DD348108 00084306
	global_atomic_add_f32 v6, v71, s[8:9] offset:520           // 000000005748: DD348208 00084706
	global_atomic_add_f32 v6, v75, s[8:9] offset:776           // 000000005750: DD348308 00084B06
	s_mov_b64 exec, s[36:37]                                   // 000000005758: BEFE0124
	ds_write_b64 v20, v[76:77]                                 // 00000000575C: D89A0000 00004C14
	ds_write_b64 v20, v[80:81] offset:8704                     // 000000005764: D89A2200 00005014
	ds_write_b64 v20, v[84:85] offset:2176                     // 00000000576C: D89A0880 00005414
	ds_write_b64 v20, v[88:89] offset:10880                    // 000000005774: D89A2A80 00005814
	ds_write_b64 v20, v[92:93] offset:4352                     // 00000000577C: D89A1100 00005C14
	ds_write_b64 v20, v[96:97] offset:13056                    // 000000005784: D89A3300 00006014
	ds_write_b64 v20, v[100:101] offset:6528                   // 00000000578C: D89A1980 00006414
	ds_write_b64 v20, v[104:105] offset:15232                  // 000000005794: D89A3B80 00006814
	s_waitcnt lgkmcnt(0)                                       // 00000000579C: BF8CC07F
	s_barrier                                                  // 0000000057A0: BF8A0000
	ds_read_b32 v76, v21                                       // 0000000057A4: D86C0000 4C000015
	ds_read_b32 v77, v21 offset:64                             // 0000000057AC: D86C0040 4D000015
	ds_read_b32 v80, v21 offset:2176                           // 0000000057B4: D86C0880 50000015
	ds_read_b32 v81, v21 offset:2240                           // 0000000057BC: D86C08C0 51000015
	ds_read_b32 v84, v21 offset:4352                           // 0000000057C4: D86C1100 54000015
	ds_read_b32 v85, v21 offset:4416                           // 0000000057CC: D86C1140 55000015
	ds_read_b32 v88, v21 offset:6528                           // 0000000057D4: D86C1980 58000015
	ds_read_b32 v89, v21 offset:6592                           // 0000000057DC: D86C19C0 59000015
	ds_read_b32 v92, v21 offset:8704                           // 0000000057E4: D86C2200 5C000015
	ds_read_b32 v93, v21 offset:8768                           // 0000000057EC: D86C2240 5D000015
	ds_read_b32 v96, v21 offset:10880                          // 0000000057F4: D86C2A80 60000015
	ds_read_b32 v97, v21 offset:10944                          // 0000000057FC: D86C2AC0 61000015
	ds_read_b32 v100, v21 offset:13056                         // 000000005804: D86C3300 64000015
	ds_read_b32 v101, v21 offset:13120                         // 00000000580C: D86C3340 65000015
	ds_read_b32 v104, v21 offset:15232                         // 000000005814: D86C3B80 68000015
	ds_read_b32 v105, v21 offset:15296                         // 00000000581C: D86C3BC0 69000015
	s_mul_i32 s60, s65, 4                                      // 000000005824: 923C8441
	s_add_u32 s8, s60, s8                                      // 000000005828: 8008083C
	s_addc_u32 s9, 0, s9                                       // 00000000582C: 82090980
	s_waitcnt lgkmcnt(0)                                       // 000000005830: BF8CC07F
	v_mov_b32_e32 v7, 0                                        // 000000005834: 7E0E0280
	s_mov_b64 exec, s[36:37]                                   // 000000005838: BEFE0124
	v_mov_b32_e32 v6, v36                                      // 00000000583C: 7E0C0324
	s_mov_b64 s[60:61], 0                                      // 000000005840: BEBC0180
	v_readlane_b32 s82, v3, 0                                  // 000000005844: D2890052 00010103
	s_and_b32 s82, s82, 0xffffff                               // 00000000584C: 8652FF52 00FFFFFF
	s_cmp_lt_u32 s82, s66                                      // 000000005854: BF0A4252
	s_cselect_b32 s20, s36, s60                                // 000000005858: 85143C24
	v_readlane_b32 s82, v3, 1                                  // 00000000585C: D2890052 00010303
	s_and_b32 s82, s82, 0xffffff                               // 000000005864: 8652FF52 00FFFFFF
	s_cmp_lt_u32 s82, s66                                      // 00000000586C: BF0A4252
	s_cselect_b32 s21, s36, s60                                // 000000005870: 85153C24
	s_mov_b64 exec, s[20:21]                                   // 000000005874: BEFE0114
	global_atomic_add_f32 v6, v76, s[8:9]                      // 000000005878: DD348000 00084C06
	global_atomic_add_f32 v6, v80, s[8:9] offset:256           // 000000005880: DD348100 00085006
	global_atomic_add_f32 v6, v84, s[8:9] offset:512           // 000000005888: DD348200 00085406
	global_atomic_add_f32 v6, v88, s[8:9] offset:768           // 000000005890: DD348300 00085806
	s_mov_b64 exec, s[36:37]                                   // 000000005898: BEFE0124
	v_mov_b32_e32 v6, v37                                      // 00000000589C: 7E0C0325
	s_mov_b64 s[60:61], 0                                      // 0000000058A0: BEBC0180
	v_readlane_b32 s82, v3, 2                                  // 0000000058A4: D2890052 00010503
	s_and_b32 s82, s82, 0xffffff                               // 0000000058AC: 8652FF52 00FFFFFF
	s_cmp_lt_u32 s82, s66                                      // 0000000058B4: BF0A4252
	s_cselect_b32 s20, s36, s60                                // 0000000058B8: 85143C24
	v_readlane_b32 s82, v3, 3                                  // 0000000058BC: D2890052 00010703
	s_and_b32 s82, s82, 0xffffff                               // 0000000058C4: 8652FF52 00FFFFFF
	s_cmp_lt_u32 s82, s66                                      // 0000000058CC: BF0A4252
	s_cselect_b32 s21, s36, s60                                // 0000000058D0: 85153C24
	s_mov_b64 exec, s[20:21]                                   // 0000000058D4: BEFE0114
	global_atomic_add_f32 v6, v77, s[8:9]                      // 0000000058D8: DD348000 00084D06
	global_atomic_add_f32 v6, v81, s[8:9] offset:256           // 0000000058E0: DD348100 00085106
	global_atomic_add_f32 v6, v85, s[8:9] offset:512           // 0000000058E8: DD348200 00085506
	global_atomic_add_f32 v6, v89, s[8:9] offset:768           // 0000000058F0: DD348300 00085906
	s_mov_b64 exec, s[36:37]                                   // 0000000058F8: BEFE0124
	v_mov_b32_e32 v6, v38                                      // 0000000058FC: 7E0C0326
	s_mov_b64 s[60:61], 0                                      // 000000005900: BEBC0180
	v_readlane_b32 s82, v3, 4                                  // 000000005904: D2890052 00010903
	s_and_b32 s82, s82, 0xffffff                               // 00000000590C: 8652FF52 00FFFFFF
	s_cmp_lt_u32 s82, s66                                      // 000000005914: BF0A4252
	s_cselect_b32 s20, s36, s60                                // 000000005918: 85143C24
	v_readlane_b32 s82, v3, 5                                  // 00000000591C: D2890052 00010B03
	s_and_b32 s82, s82, 0xffffff                               // 000000005924: 8652FF52 00FFFFFF
	s_cmp_lt_u32 s82, s66                                      // 00000000592C: BF0A4252
	s_cselect_b32 s21, s36, s60                                // 000000005930: 85153C24
	s_mov_b64 exec, s[20:21]                                   // 000000005934: BEFE0114
	global_atomic_add_f32 v6, v92, s[8:9]                      // 000000005938: DD348000 00085C06
	global_atomic_add_f32 v6, v96, s[8:9] offset:256           // 000000005940: DD348100 00086006
	global_atomic_add_f32 v6, v100, s[8:9] offset:512          // 000000005948: DD348200 00086406
	global_atomic_add_f32 v6, v104, s[8:9] offset:768          // 000000005950: DD348300 00086806
	s_mov_b64 exec, s[36:37]                                   // 000000005958: BEFE0124
	v_mov_b32_e32 v6, v39                                      // 00000000595C: 7E0C0327
	s_mov_b64 s[60:61], 0                                      // 000000005960: BEBC0180
	v_readlane_b32 s82, v3, 6                                  // 000000005964: D2890052 00010D03
	s_and_b32 s82, s82, 0xffffff                               // 00000000596C: 8652FF52 00FFFFFF
	s_cmp_lt_u32 s82, s66                                      // 000000005974: BF0A4252
	s_cselect_b32 s20, s36, s60                                // 000000005978: 85143C24
	v_readlane_b32 s82, v3, 7                                  // 00000000597C: D2890052 00010F03
	s_and_b32 s82, s82, 0xffffff                               // 000000005984: 8652FF52 00FFFFFF
	s_cmp_lt_u32 s82, s66                                      // 00000000598C: BF0A4252
	s_cselect_b32 s21, s36, s60                                // 000000005990: 85153C24
	s_mov_b64 exec, s[20:21]                                   // 000000005994: BEFE0114
	global_atomic_add_f32 v6, v93, s[8:9]                      // 000000005998: DD348000 00085D06
	global_atomic_add_f32 v6, v97, s[8:9] offset:256           // 0000000059A0: DD348100 00086106
	global_atomic_add_f32 v6, v101, s[8:9] offset:512          // 0000000059A8: DD348200 00086506
	global_atomic_add_f32 v6, v105, s[8:9] offset:768          // 0000000059B0: DD348300 00086906
	s_mov_b64 exec, s[36:37]                                   // 0000000059B8: BEFE0124
	ds_write_b64 v20, v[78:79]                                 // 0000000059BC: D89A0000 00004E14
	ds_write_b64 v20, v[82:83] offset:8704                     // 0000000059C4: D89A2200 00005214
	ds_write_b64 v20, v[86:87] offset:2176                     // 0000000059CC: D89A0880 00005614
	ds_write_b64 v20, v[90:91] offset:10880                    // 0000000059D4: D89A2A80 00005A14
	ds_write_b64 v20, v[94:95] offset:4352                     // 0000000059DC: D89A1100 00005E14
	ds_write_b64 v20, v[98:99] offset:13056                    // 0000000059E4: D89A3300 00006214
	ds_write_b64 v20, v[102:103] offset:6528                   // 0000000059EC: D89A1980 00006614
	ds_write_b64 v20, v[106:107] offset:15232                  // 0000000059F4: D89A3B80 00006A14
	s_waitcnt lgkmcnt(0)                                       // 0000000059FC: BF8CC07F
	s_barrier                                                  // 000000005A00: BF8A0000
	ds_read_b32 v78, v21                                       // 000000005A04: D86C0000 4E000015
	ds_read_b32 v79, v21 offset:64                             // 000000005A0C: D86C0040 4F000015
	ds_read_b32 v82, v21 offset:2176                           // 000000005A14: D86C0880 52000015
	ds_read_b32 v83, v21 offset:2240                           // 000000005A1C: D86C08C0 53000015
	ds_read_b32 v86, v21 offset:4352                           // 000000005A24: D86C1100 56000015
	ds_read_b32 v87, v21 offset:4416                           // 000000005A2C: D86C1140 57000015
	ds_read_b32 v90, v21 offset:6528                           // 000000005A34: D86C1980 5A000015
	ds_read_b32 v91, v21 offset:6592                           // 000000005A3C: D86C19C0 5B000015
	ds_read_b32 v94, v21 offset:8704                           // 000000005A44: D86C2200 5E000015
	ds_read_b32 v95, v21 offset:8768                           // 000000005A4C: D86C2240 5F000015
	ds_read_b32 v98, v21 offset:10880                          // 000000005A54: D86C2A80 62000015
	ds_read_b32 v99, v21 offset:10944                          // 000000005A5C: D86C2AC0 63000015
	ds_read_b32 v102, v21 offset:13056                         // 000000005A64: D86C3300 66000015
	ds_read_b32 v103, v21 offset:13120                         // 000000005A6C: D86C3340 67000015
	ds_read_b32 v106, v21 offset:15232                         // 000000005A74: D86C3B80 6A000015
	ds_read_b32 v107, v21 offset:15296                         // 000000005A7C: D86C3BC0 6B000015
	s_waitcnt lgkmcnt(0)                                       // 000000005A84: BF8CC07F
	v_mov_b32_e32 v7, 0                                        // 000000005A88: 7E0E0280
	s_mov_b64 exec, s[36:37]                                   // 000000005A8C: BEFE0124
	v_mov_b32_e32 v6, v36                                      // 000000005A90: 7E0C0324
	s_mov_b64 s[60:61], 0                                      // 000000005A94: BEBC0180
	v_readlane_b32 s82, v3, 0                                  // 000000005A98: D2890052 00010103
	s_and_b32 s82, s82, 0xffffff                               // 000000005AA0: 8652FF52 00FFFFFF
	s_cmp_lt_u32 s82, s66                                      // 000000005AA8: BF0A4252
	s_cselect_b32 s20, s36, s60                                // 000000005AAC: 85143C24
	v_readlane_b32 s82, v3, 1                                  // 000000005AB0: D2890052 00010303
	s_and_b32 s82, s82, 0xffffff                               // 000000005AB8: 8652FF52 00FFFFFF
	s_cmp_lt_u32 s82, s66                                      // 000000005AC0: BF0A4252
	s_cselect_b32 s21, s36, s60                                // 000000005AC4: 85153C24
	s_mov_b64 exec, s[20:21]                                   // 000000005AC8: BEFE0114
	global_atomic_add_f32 v6, v78, s[8:9] offset:8             // 000000005ACC: DD348008 00084E06
	global_atomic_add_f32 v6, v82, s[8:9] offset:264           // 000000005AD4: DD348108 00085206
	global_atomic_add_f32 v6, v86, s[8:9] offset:520           // 000000005ADC: DD348208 00085606
	global_atomic_add_f32 v6, v90, s[8:9] offset:776           // 000000005AE4: DD348308 00085A06
	s_mov_b64 exec, s[36:37]                                   // 000000005AEC: BEFE0124
	v_mov_b32_e32 v6, v37                                      // 000000005AF0: 7E0C0325
	s_mov_b64 s[60:61], 0                                      // 000000005AF4: BEBC0180
	v_readlane_b32 s82, v3, 2                                  // 000000005AF8: D2890052 00010503
	s_and_b32 s82, s82, 0xffffff                               // 000000005B00: 8652FF52 00FFFFFF
	s_cmp_lt_u32 s82, s66                                      // 000000005B08: BF0A4252
	s_cselect_b32 s20, s36, s60                                // 000000005B0C: 85143C24
	v_readlane_b32 s82, v3, 3                                  // 000000005B10: D2890052 00010703
	s_and_b32 s82, s82, 0xffffff                               // 000000005B18: 8652FF52 00FFFFFF
	s_cmp_lt_u32 s82, s66                                      // 000000005B20: BF0A4252
	s_cselect_b32 s21, s36, s60                                // 000000005B24: 85153C24
	s_mov_b64 exec, s[20:21]                                   // 000000005B28: BEFE0114
	global_atomic_add_f32 v6, v79, s[8:9] offset:8             // 000000005B2C: DD348008 00084F06
	global_atomic_add_f32 v6, v83, s[8:9] offset:264           // 000000005B34: DD348108 00085306
	global_atomic_add_f32 v6, v87, s[8:9] offset:520           // 000000005B3C: DD348208 00085706
	global_atomic_add_f32 v6, v91, s[8:9] offset:776           // 000000005B44: DD348308 00085B06
	s_mov_b64 exec, s[36:37]                                   // 000000005B4C: BEFE0124
	v_mov_b32_e32 v6, v38                                      // 000000005B50: 7E0C0326
	s_mov_b64 s[60:61], 0                                      // 000000005B54: BEBC0180
	v_readlane_b32 s82, v3, 4                                  // 000000005B58: D2890052 00010903
	s_and_b32 s82, s82, 0xffffff                               // 000000005B60: 8652FF52 00FFFFFF
	s_cmp_lt_u32 s82, s66                                      // 000000005B68: BF0A4252
	s_cselect_b32 s20, s36, s60                                // 000000005B6C: 85143C24
	v_readlane_b32 s82, v3, 5                                  // 000000005B70: D2890052 00010B03
	s_and_b32 s82, s82, 0xffffff                               // 000000005B78: 8652FF52 00FFFFFF
	s_cmp_lt_u32 s82, s66                                      // 000000005B80: BF0A4252
	s_cselect_b32 s21, s36, s60                                // 000000005B84: 85153C24
	s_mov_b64 exec, s[20:21]                                   // 000000005B88: BEFE0114
	global_atomic_add_f32 v6, v94, s[8:9] offset:8             // 000000005B8C: DD348008 00085E06
	global_atomic_add_f32 v6, v98, s[8:9] offset:264           // 000000005B94: DD348108 00086206
	global_atomic_add_f32 v6, v102, s[8:9] offset:520          // 000000005B9C: DD348208 00086606
	global_atomic_add_f32 v6, v106, s[8:9] offset:776          // 000000005BA4: DD348308 00086A06
	s_mov_b64 exec, s[36:37]                                   // 000000005BAC: BEFE0124
	v_mov_b32_e32 v6, v39                                      // 000000005BB0: 7E0C0327
	s_mov_b64 s[60:61], 0                                      // 000000005BB4: BEBC0180
	v_readlane_b32 s82, v3, 6                                  // 000000005BB8: D2890052 00010D03
	s_and_b32 s82, s82, 0xffffff                               // 000000005BC0: 8652FF52 00FFFFFF
	s_cmp_lt_u32 s82, s66                                      // 000000005BC8: BF0A4252
	s_cselect_b32 s20, s36, s60                                // 000000005BCC: 85143C24
	v_readlane_b32 s82, v3, 7                                  // 000000005BD0: D2890052 00010F03
	s_and_b32 s82, s82, 0xffffff                               // 000000005BD8: 8652FF52 00FFFFFF
	s_cmp_lt_u32 s82, s66                                      // 000000005BE0: BF0A4252
	s_cselect_b32 s21, s36, s60                                // 000000005BE4: 85153C24
	s_mov_b64 exec, s[20:21]                                   // 000000005BE8: BEFE0114
	global_atomic_add_f32 v6, v95, s[8:9] offset:8             // 000000005BEC: DD348008 00085F06
	global_atomic_add_f32 v6, v99, s[8:9] offset:264           // 000000005BF4: DD348108 00086306
	global_atomic_add_f32 v6, v103, s[8:9] offset:520          // 000000005BFC: DD348208 00086706
	global_atomic_add_f32 v6, v107, s[8:9] offset:776          // 000000005C04: DD348308 00086B06
	s_mov_b64 exec, s[36:37]                                   // 000000005C0C: BEFE0124
	s_branch label_1710                                        // 000000005C10: BF820A88

0000000000005c14 <label_0C88>:
	s_waitcnt vmcnt(6) lgkmcnt(0)                              // 000000005C14: BF8C0076
	s_barrier                                                  // 000000005C18: BF8A0000
	v_mov_b32_e32 v34, v30                                     // 000000005C1C: 7E44031E
	v_mov_b32_e32 v35, v31                                     // 000000005C20: 7E46031F
	v_mul_f32_dpp v4, v24, v34 row_newbcast:0 row_mask:0xf bank_mask:0xf// 000000005C24: 0A0844FA FF015018
	v_mfma_f32_16x16x32_fp8_fp8 v[8:11], a[32:33], a[0:1], 0   // 000000005C2C: D3F30008 1A020120
	buffer_load_dword v27, v23, s[32:35], 0 offen              // 000000005C34: E0501000 80081B17
	buffer_load_dwordx4 a[64:67], v40, s[84:87], 0 offen       // 000000005C3C: E05C1000 80954028
	v_mfma_f32_16x16x32_fp8_fp8 v[8:11], a[34:35], a[2:3], v[8:11]// 000000005C44: D3F30008 1C220522
	v_mfma_f32_16x16x32_fp8_fp8 v[8:11], a[36:37], a[4:5], v[8:11]// 000000005C4C: D3F30008 1C220924
	v_mfma_f32_16x16x32_fp8_fp8 v[8:11], a[38:39], a[6:7], v[8:11]// 000000005C54: D3F30008 1C220D26
	v_mul_f32_dpp v6, v24, v35 row_newbcast:0 row_mask:0xf bank_mask:0xf// 000000005C5C: 0A0C46FA FF015018
	v_mfma_f32_16x16x32_fp8_fp8 v[12:15], a[32:33], a[8:9], 0  // 000000005C64: D3F3000C 1A021120
	buffer_load_dwordx4 a[68:71], v40, s[84:87], 0 offen offset:1024// 000000005C6C: E05C1400 80954428
	v_mfma_f32_16x16x32_fp8_fp8 v[12:15], a[34:35], a[10:11], v[12:15]// 000000005C74: D3F3000C 1C321522
	v_mfma_f32_16x16x32_fp8_fp8 v[12:15], a[36:37], a[12:13], v[12:15]// 000000005C7C: D3F3000C 1C321924
	v_mfma_f32_16x16x32_fp8_fp8 v[12:15], a[38:39], a[14:15], v[12:15]// 000000005C84: D3F3000C 1C321D26
	v_fma_f32 v44, v8, v4, v44                                 // 000000005C8C: D1CB002C 04B20908
	v_fma_f32 v45, v9, v4, v45                                 // 000000005C94: D1CB002D 04B60909
	v_fma_f32 v46, v10, v4, v46                                // 000000005C9C: D1CB002E 04BA090A
	v_fma_f32 v47, v11, v4, v47                                // 000000005CA4: D1CB002F 04BE090B
	s_waitcnt vmcnt(7)                                         // 000000005CAC: BF8C0F77
	v_mul_f32_dpp v4, v24, v34 row_newbcast:0 row_mask:0xf bank_mask:0xf// 000000005CB0: 0A0844FA FF015018
	v_mfma_f32_16x16x32_fp8_fp8 v[8:11], a[40:41], a[0:1], 0   // 000000005CB8: D3F30008 1A020128
	buffer_load_dwordx4 a[72:75], v41, s[84:87], 0 offen       // 000000005CC0: E05C1000 80954829
	v_mfma_f32_16x16x32_fp8_fp8 v[8:11], a[42:43], a[2:3], v[8:11]// 000000005CC8: D3F30008 1C22052A
	v_mfma_f32_16x16x32_fp8_fp8 v[8:11], a[44:45], a[4:5], v[8:11]// 000000005CD0: D3F30008 1C22092C
	v_mfma_f32_16x16x32_fp8_fp8 v[8:11], a[46:47], a[6:7], v[8:11]// 000000005CD8: D3F30008 1C220D2E
	v_fma_f32 v48, v12, v6, v48                                // 000000005CE0: D1CB0030 04C20D0C
	v_fma_f32 v49, v13, v6, v49                                // 000000005CE8: D1CB0031 04C60D0D
	v_fma_f32 v50, v14, v6, v50                                // 000000005CF0: D1CB0032 04CA0D0E
	v_fma_f32 v51, v15, v6, v51                                // 000000005CF8: D1CB0033 04CE0D0F
	v_mul_f32_dpp v6, v24, v35 row_newbcast:0 row_mask:0xf bank_mask:0xf// 000000005D00: 0A0C46FA FF015018
	v_mfma_f32_16x16x32_fp8_fp8 v[12:15], a[40:41], a[8:9], 0  // 000000005D08: D3F3000C 1A021128
	buffer_load_dwordx4 a[76:79], v41, s[84:87], 0 offen offset:1024// 000000005D10: E05C1400 80954C29
	v_mfma_f32_16x16x32_fp8_fp8 v[12:15], a[42:43], a[10:11], v[12:15]// 000000005D18: D3F3000C 1C32152A
	v_mfma_f32_16x16x32_fp8_fp8 v[12:15], a[44:45], a[12:13], v[12:15]// 000000005D20: D3F3000C 1C32192C
	v_mfma_f32_16x16x32_fp8_fp8 v[12:15], a[46:47], a[14:15], v[12:15]// 000000005D28: D3F3000C 1C321D2E
	v_fma_f32 v52, v8, v4, v52                                 // 000000005D30: D1CB0034 04D20908
	v_fma_f32 v53, v9, v4, v53                                 // 000000005D38: D1CB0035 04D60909
	v_fma_f32 v54, v10, v4, v54                                // 000000005D40: D1CB0036 04DA090A
	v_fma_f32 v55, v11, v4, v55                                // 000000005D48: D1CB0037 04DE090B
	s_waitcnt vmcnt(7)                                         // 000000005D50: BF8C0F77
	v_mul_f32_dpp v4, v24, v34 row_newbcast:1 row_mask:0xf bank_mask:0xf// 000000005D54: 0A0844FA FF015118
	v_mfma_f32_16x16x32_fp8_fp8 v[8:11], a[48:49], a[0:1], 0   // 000000005D5C: D3F30008 1A020130
	buffer_load_dwordx4 a[80:83], v42, s[84:87], 0 offen       // 000000005D64: E05C1000 8095502A
	v_mfma_f32_16x16x32_fp8_fp8 v[8:11], a[50:51], a[2:3], v[8:11]// 000000005D6C: D3F30008 1C220532
	v_mfma_f32_16x16x32_fp8_fp8 v[8:11], a[52:53], a[4:5], v[8:11]// 000000005D74: D3F30008 1C220934
	v_mfma_f32_16x16x32_fp8_fp8 v[8:11], a[54:55], a[6:7], v[8:11]// 000000005D7C: D3F30008 1C220D36
	v_fma_f32 v56, v12, v6, v56                                // 000000005D84: D1CB0038 04E20D0C
	v_fma_f32 v57, v13, v6, v57                                // 000000005D8C: D1CB0039 04E60D0D
	v_fma_f32 v58, v14, v6, v58                                // 000000005D94: D1CB003A 04EA0D0E
	v_fma_f32 v59, v15, v6, v59                                // 000000005D9C: D1CB003B 04EE0D0F
	v_mul_f32_dpp v6, v24, v35 row_newbcast:1 row_mask:0xf bank_mask:0xf// 000000005DA4: 0A0C46FA FF015118
	v_mfma_f32_16x16x32_fp8_fp8 v[12:15], a[48:49], a[8:9], 0  // 000000005DAC: D3F3000C 1A021130
	buffer_load_dwordx4 a[84:87], v42, s[84:87], 0 offen offset:1024// 000000005DB4: E05C1400 8095542A
	v_mfma_f32_16x16x32_fp8_fp8 v[12:15], a[50:51], a[10:11], v[12:15]// 000000005DBC: D3F3000C 1C321532
	v_mfma_f32_16x16x32_fp8_fp8 v[12:15], a[52:53], a[12:13], v[12:15]// 000000005DC4: D3F3000C 1C321934
	v_mfma_f32_16x16x32_fp8_fp8 v[12:15], a[54:55], a[14:15], v[12:15]// 000000005DCC: D3F3000C 1C321D36
	v_fma_f32 v60, v8, v4, v60                                 // 000000005DD4: D1CB003C 04F20908
	v_fma_f32 v61, v9, v4, v61                                 // 000000005DDC: D1CB003D 04F60909
	v_fma_f32 v62, v10, v4, v62                                // 000000005DE4: D1CB003E 04FA090A
	v_fma_f32 v63, v11, v4, v63                                // 000000005DEC: D1CB003F 04FE090B
	s_waitcnt vmcnt(7)                                         // 000000005DF4: BF8C0F77
	v_mul_f32_dpp v4, v24, v34 row_newbcast:1 row_mask:0xf bank_mask:0xf// 000000005DF8: 0A0844FA FF015118
	v_mfma_f32_16x16x32_fp8_fp8 v[8:11], a[56:57], a[0:1], 0   // 000000005E00: D3F30008 1A020138
	buffer_load_dwordx4 a[88:91], v43, s[84:87], 0 offen       // 000000005E08: E05C1000 8095582B
	v_mfma_f32_16x16x32_fp8_fp8 v[8:11], a[58:59], a[2:3], v[8:11]// 000000005E10: D3F30008 1C22053A
	v_mfma_f32_16x16x32_fp8_fp8 v[8:11], a[60:61], a[4:5], v[8:11]// 000000005E18: D3F30008 1C22093C
	v_mfma_f32_16x16x32_fp8_fp8 v[8:11], a[62:63], a[6:7], v[8:11]// 000000005E20: D3F30008 1C220D3E
	v_fma_f32 v64, v12, v6, v64                                // 000000005E28: D1CB0040 05020D0C
	v_fma_f32 v65, v13, v6, v65                                // 000000005E30: D1CB0041 05060D0D
	v_fma_f32 v66, v14, v6, v66                                // 000000005E38: D1CB0042 050A0D0E
	v_fma_f32 v67, v15, v6, v67                                // 000000005E40: D1CB0043 050E0D0F
	v_mul_f32_dpp v6, v24, v35 row_newbcast:1 row_mask:0xf bank_mask:0xf// 000000005E48: 0A0C46FA FF015118
	v_mfma_f32_16x16x32_fp8_fp8 v[12:15], a[56:57], a[8:9], 0  // 000000005E50: D3F3000C 1A021138
	buffer_load_dwordx4 a[92:95], v43, s[84:87], 0 offen offset:1024// 000000005E58: E05C1400 80955C2B
	buffer_load_dword v36, s[20:23], 0 offen lds               // 000000005E60: E0511000 80050024
	s_add_u32 m0, 0x100, s48                                   // 000000005E68: 807C30FF 00000100
	v_mfma_f32_16x16x32_fp8_fp8 v[12:15], a[58:59], a[10:11], v[12:15]// 000000005E70: D3F3000C 1C32153A
	s_add_u32 s60, 0x80, s80                                   // 000000005E78: 803C50FF 00000080
	s_cmp_lt_u32 s60, s81                                      // 000000005E80: BF0A513C
	s_cselect_b32 s83, s83, 0                                  // 000000005E84: 85538053
	s_cselect_b32 s4, s4, 0                                    // 000000005E88: 85048004
	v_mfma_f32_16x16x32_fp8_fp8 v[12:15], a[60:61], a[12:13], v[12:15]// 000000005E8C: D3F3000C 1C32193C
	buffer_load_dword v37, s[20:23], 0 offen lds               // 000000005E94: E0511000 80050025
	s_add_u32 m0, 0x200, s48                                   // 000000005E9C: 807C30FF 00000200
	s_add_u32 s32, s4, s32                                     // 000000005EA4: 80202004
	s_addc_u32 s33, 0, s33                                     // 000000005EA8: 82212180
	v_mfma_f32_16x16x32_fp8_fp8 v[12:15], a[62:63], a[14:15], v[12:15]// 000000005EAC: D3F3000C 1C321D3E
	v_fma_f32 v68, v8, v4, v68                                 // 000000005EB4: D1CB0044 05120908
	v_fma_f32 v69, v9, v4, v69                                 // 000000005EBC: D1CB0045 05160909
	v_fma_f32 v70, v10, v4, v70                                // 000000005EC4: D1CB0046 051A090A
	v_fma_f32 v71, v11, v4, v71                                // 000000005ECC: D1CB0047 051E090B
	v_fma_f32 v72, v12, v6, v72                                // 000000005ED4: D1CB0048 05220D0C
	v_fma_f32 v73, v13, v6, v73                                // 000000005EDC: D1CB0049 05260D0D
	v_fma_f32 v74, v14, v6, v74                                // 000000005EE4: D1CB004A 052A0D0E
	v_fma_f32 v75, v15, v6, v75                                // 000000005EEC: D1CB004B 052E0D0F
	buffer_load_dword v38, s[20:23], 0 offen lds               // 000000005EF4: E0511000 80050026
	s_add_u32 m0, 0x300, s48                                   // 000000005EFC: 807C30FF 00000300
	buffer_load_dword v39, s[20:23], 0 offen lds               // 000000005F04: E0511000 80050027
	s_add_u32 m0, 0, s49                                       // 000000005F0C: 807C3180
	buffer_load_dword v30, v28, s[28:31], 0 offen              // 000000005F10: E0501000 80071E1C
	buffer_load_dword v31, v29, s[28:31], 0 offen              // 000000005F18: E0501000 80071F1D
	s_waitcnt vmcnt(6)                                         // 000000005F20: BF8C0F76
	v_mul_f32_dpp v4, v27, v34 row_newbcast:0 row_mask:0xf bank_mask:0xf// 000000005F24: 0A0844FA FF01501B
	v_mfma_f32_16x16x32_fp8_fp8 v[8:11], a[64:65], a[0:1], 0   // 000000005F2C: D3F30008 1A020140
	buffer_load_dword v24, v22, s[32:35], 0 offen              // 000000005F34: E0501000 80081816
	buffer_load_dwordx4 a[32:35], v40, s[24:27], 0 offen       // 000000005F3C: E05C1000 80862028
	v_mfma_f32_16x16x32_fp8_fp8 v[8:11], a[66:67], a[2:3], v[8:11]// 000000005F44: D3F30008 1C220542
	v_mfma_f32_16x16x32_fp8_fp8 v[8:11], a[68:69], a[4:5], v[8:11]// 000000005F4C: D3F30008 1C220944
	ds_read_b128 a[16:19], v2 offset:4224                      // 000000005F54: DBFE1080 10000002
	ds_read_b128 a[20:23], v2 offset:4288                      // 000000005F5C: DBFE10C0 14000002
	v_mfma_f32_16x16x32_fp8_fp8 v[8:11], a[70:71], a[6:7], v[8:11]// 000000005F64: D3F30008 1C220D46
	v_mfma_f32_16x16x32_fp8_fp8 v[12:15], a[72:73], a[0:1], 0  // 000000005F6C: D3F3000C 1A020148
	buffer_load_dwordx4 a[36:39], v40, s[24:27], 0 offen offset:1024// 000000005F74: E05C1400 80862428
	v_mfma_f32_16x16x32_fp8_fp8 v[12:15], a[74:75], a[2:3], v[12:15]// 000000005F7C: D3F3000C 1C32054A
	v_mfma_f32_16x16x32_fp8_fp8 v[12:15], a[76:77], a[4:5], v[12:15]// 000000005F84: D3F3000C 1C32094C
	ds_read_b128 a[24:27], v2 offset:4736                      // 000000005F8C: DBFE1280 18000002
	ds_read_b128 a[28:31], v2 offset:4800                      // 000000005F94: DBFE12C0 1C000002
	v_mfma_f32_16x16x32_fp8_fp8 v[12:15], a[78:79], a[6:7], v[12:15]// 000000005F9C: D3F3000C 1C320D4E
	v_fma_f32 v76, v8, v4, v76                                 // 000000005FA4: D1CB004C 05320908
	v_fma_f32 v77, v9, v4, v77                                 // 000000005FAC: D1CB004D 05360909
	v_fma_f32 v78, v10, v4, v78                                // 000000005FB4: D1CB004E 053A090A
	v_fma_f32 v79, v11, v4, v79                                // 000000005FBC: D1CB004F 053E090B
	v_mul_f32_dpp v6, v27, v34 row_newbcast:1 row_mask:0xf bank_mask:0xf// 000000005FC4: 0A0C44FA FF01511B
	v_mfma_f32_16x16x32_fp8_fp8 v[8:11], a[80:81], a[0:1], 0   // 000000005FCC: D3F30008 1A020150
	buffer_load_dwordx4 a[40:43], v41, s[24:27], 0 offen       // 000000005FD4: E05C1000 80862829
	v_mfma_f32_16x16x32_fp8_fp8 v[8:11], a[82:83], a[2:3], v[8:11]// 000000005FDC: D3F30008 1C220552
	v_mfma_f32_16x16x32_fp8_fp8 v[8:11], a[84:85], a[4:5], v[8:11]// 000000005FE4: D3F30008 1C220954
	v_mfma_f32_16x16x32_fp8_fp8 v[8:11], a[86:87], a[6:7], v[8:11]// 000000005FEC: D3F30008 1C220D56
	v_fma_f32 v84, v12, v4, v84                                // 000000005FF4: D1CB0054 0552090C
	v_fma_f32 v85, v13, v4, v85                                // 000000005FFC: D1CB0055 0556090D
	v_fma_f32 v86, v14, v4, v86                                // 000000006004: D1CB0056 055A090E
	v_fma_f32 v87, v15, v4, v87                                // 00000000600C: D1CB0057 055E090F
	v_mfma_f32_16x16x32_fp8_fp8 v[12:15], a[88:89], a[0:1], 0  // 000000006014: D3F3000C 1A020158
	buffer_load_dwordx4 a[44:47], v41, s[24:27], 0 offen offset:1024// 00000000601C: E05C1400 80862C29
	v_mfma_f32_16x16x32_fp8_fp8 v[12:15], a[90:91], a[2:3], v[12:15]// 000000006024: D3F3000C 1C32055A
	v_mfma_f32_16x16x32_fp8_fp8 v[12:15], a[92:93], a[4:5], v[12:15]// 00000000602C: D3F3000C 1C32095C
	v_mfma_f32_16x16x32_fp8_fp8 v[12:15], a[94:95], a[6:7], v[12:15]// 000000006034: D3F3000C 1C320D5E
	v_fma_f32 v92, v8, v6, v92                                 // 00000000603C: D1CB005C 05720D08
	v_fma_f32 v93, v9, v6, v93                                 // 000000006044: D1CB005D 05760D09
	v_fma_f32 v94, v10, v6, v94                                // 00000000604C: D1CB005E 057A0D0A
	v_fma_f32 v95, v11, v6, v95                                // 000000006054: D1CB005F 057E0D0B
	v_mul_f32_dpp v4, v27, v35 row_newbcast:0 row_mask:0xf bank_mask:0xf// 00000000605C: 0A0846FA FF01501B
	v_mfma_f32_16x16x32_fp8_fp8 v[8:11], a[64:65], a[8:9], 0   // 000000006064: D3F30008 1A021140
	buffer_load_dwordx4 a[48:51], v42, s[24:27], 0 offen       // 00000000606C: E05C1000 8086302A
	v_mfma_f32_16x16x32_fp8_fp8 v[8:11], a[66:67], a[10:11], v[8:11]// 000000006074: D3F30008 1C221542
	v_mfma_f32_16x16x32_fp8_fp8 v[8:11], a[68:69], a[12:13], v[8:11]// 00000000607C: D3F30008 1C221944
	v_mfma_f32_16x16x32_fp8_fp8 v[8:11], a[70:71], a[14:15], v[8:11]// 000000006084: D3F30008 1C221D46
	v_fma_f32 v100, v12, v6, v100                              // 00000000608C: D1CB0064 05920D0C
	v_fma_f32 v101, v13, v6, v101                              // 000000006094: D1CB0065 05960D0D
	v_fma_f32 v102, v14, v6, v102                              // 00000000609C: D1CB0066 059A0D0E
	v_fma_f32 v103, v15, v6, v103                              // 0000000060A4: D1CB0067 059E0D0F
	v_mfma_f32_16x16x32_fp8_fp8 v[12:15], a[72:73], a[8:9], 0  // 0000000060AC: D3F3000C 1A021148
	buffer_load_dwordx4 a[52:55], v42, s[24:27], 0 offen offset:1024// 0000000060B4: E05C1400 8086342A
	v_mfma_f32_16x16x32_fp8_fp8 v[12:15], a[74:75], a[10:11], v[12:15]// 0000000060BC: D3F3000C 1C32154A
	v_mfma_f32_16x16x32_fp8_fp8 v[12:15], a[76:77], a[12:13], v[12:15]// 0000000060C4: D3F3000C 1C32194C
	v_mfma_f32_16x16x32_fp8_fp8 v[12:15], a[78:79], a[14:15], v[12:15]// 0000000060CC: D3F3000C 1C321D4E
	v_fma_f32 v80, v8, v4, v80                                 // 0000000060D4: D1CB0050 05420908
	v_fma_f32 v81, v9, v4, v81                                 // 0000000060DC: D1CB0051 05460909
	v_fma_f32 v82, v10, v4, v82                                // 0000000060E4: D1CB0052 054A090A
	v_fma_f32 v83, v11, v4, v83                                // 0000000060EC: D1CB0053 054E090B
	v_mul_f32_dpp v6, v27, v35 row_newbcast:1 row_mask:0xf bank_mask:0xf// 0000000060F4: 0A0C46FA FF01511B
	v_mfma_f32_16x16x32_fp8_fp8 v[8:11], a[80:81], a[8:9], 0   // 0000000060FC: D3F30008 1A021150
	buffer_load_dwordx4 a[56:59], v43, s[24:27], 0 offen       // 000000006104: E05C1000 8086382B
	v_mfma_f32_16x16x32_fp8_fp8 v[8:11], a[82:83], a[10:11], v[8:11]// 00000000610C: D3F30008 1C221552
	v_mfma_f32_16x16x32_fp8_fp8 v[8:11], a[84:85], a[12:13], v[8:11]// 000000006114: D3F30008 1C221954
	s_add_u32 s60, 0x180, s80                                  // 00000000611C: 803C50FF 00000180
	s_cmp_lt_u32 s60, s81                                      // 000000006124: BF0A513C
	s_cselect_b32 s57, s57, 0                                  // 000000006128: 85398039
	s_cselect_b32 s3, s3, 0                                    // 00000000612C: 85038003
	v_mfma_f32_16x16x32_fp8_fp8 v[8:11], a[86:87], a[14:15], v[8:11]// 000000006130: D3F30008 1C221D56
	s_add_u32 s60, 0x100, s80                                  // 000000006138: 803C50FF 00000100
	s_cmp_lt_u32 s60, s81                                      // 000000006140: BF0A513C
	s_cselect_b32 s58, s58, 0                                  // 000000006144: 853A803A
	v_fma_f32 v88, v12, v4, v88                                // 000000006148: D1CB0058 0562090C
	v_fma_f32 v89, v13, v4, v89                                // 000000006150: D1CB0059 0566090D
	v_fma_f32 v90, v14, v4, v90                                // 000000006158: D1CB005A 056A090E
	v_fma_f32 v91, v15, v4, v91                                // 000000006160: D1CB005B 056E090F
	v_mfma_f32_16x16x32_fp8_fp8 v[12:15], a[88:89], a[8:9], 0  // 000000006168: D3F3000C 1A021158
	buffer_load_dwordx4 a[60:63], v43, s[24:27], 0 offen offset:1024// 000000006170: E05C1400 80863C2B
	s_add_u32 s24, s58, s24                                    // 000000006178: 8018183A
	s_addc_u32 s25, 0, s25                                     // 00000000617C: 82191980
	v_mfma_f32_16x16x32_fp8_fp8 v[12:15], a[90:91], a[10:11], v[12:15]// 000000006180: D3F3000C 1C32155A
	s_add_u32 s20, s57, s20                                    // 000000006188: 80141439
	s_addc_u32 s21, 0, s21                                     // 00000000618C: 82151580
	s_add_u32 s28, s3, s28                                     // 000000006190: 801C1C03
	s_addc_u32 s29, 0, s29                                     // 000000006194: 821D1D80
	v_mfma_f32_16x16x32_fp8_fp8 v[12:15], a[92:93], a[12:13], v[12:15]// 000000006198: D3F3000C 1C32195C
	s_add_u32 s84, s83, s84                                    // 0000000061A0: 80545453
	s_addc_u32 s85, 0, s85                                     // 0000000061A4: 82555580
	v_mfma_f32_16x16x32_fp8_fp8 v[12:15], a[94:95], a[14:15], v[12:15]// 0000000061A8: D3F3000C 1C321D5E
	v_fma_f32 v96, v8, v6, v96                                 // 0000000061B0: D1CB0060 05820D08
	v_fma_f32 v97, v9, v6, v97                                 // 0000000061B8: D1CB0061 05860D09
	v_fma_f32 v98, v10, v6, v98                                // 0000000061C0: D1CB0062 058A0D0A
	v_fma_f32 v99, v11, v6, v99                                // 0000000061C8: D1CB0063 058E0D0B
	v_fma_f32 v104, v12, v6, v104                              // 0000000061D0: D1CB0068 05A20D0C
	v_fma_f32 v105, v13, v6, v105                              // 0000000061D8: D1CB0069 05A60D0D
	v_fma_f32 v106, v14, v6, v106                              // 0000000061E0: D1CB006A 05AA0D0E
	v_fma_f32 v107, v15, v6, v107                              // 0000000061E8: D1CB006B 05AE0D0F
	s_addk_i32 s80, 0x80                                       // 0000000061F0: B7500080
	s_cmp_lt_i32 s80, s81                                      // 0000000061F4: BF045150
	s_cbranch_scc0 label_0F7D                                  // 0000000061F8: BF84017B
	s_waitcnt vmcnt(6) lgkmcnt(0)                              // 0000000061FC: BF8C0076
	s_barrier                                                  // 000000006200: BF8A0000
	v_mov_b32_e32 v34, v32                                     // 000000006204: 7E440320
	v_mov_b32_e32 v35, v33                                     // 000000006208: 7E460321
	v_mul_f32_dpp v4, v24, v34 row_newbcast:0 row_mask:0xf bank_mask:0xf// 00000000620C: 0A0844FA FF015018
	v_mfma_f32_16x16x32_fp8_fp8 v[8:11], a[32:33], a[16:17], 0 // 000000006214: D3F30008 1A022120
	buffer_load_dword v27, v23, s[32:35], 0 offen              // 00000000621C: E0501000 80081B17
	buffer_load_dwordx4 a[64:67], v40, s[84:87], 0 offen       // 000000006224: E05C1000 80954028
	v_mfma_f32_16x16x32_fp8_fp8 v[8:11], a[34:35], a[18:19], v[8:11]// 00000000622C: D3F30008 1C222522
	v_mfma_f32_16x16x32_fp8_fp8 v[8:11], a[36:37], a[20:21], v[8:11]// 000000006234: D3F30008 1C222924
	v_mfma_f32_16x16x32_fp8_fp8 v[8:11], a[38:39], a[22:23], v[8:11]// 00000000623C: D3F30008 1C222D26
	v_mul_f32_dpp v6, v24, v35 row_newbcast:0 row_mask:0xf bank_mask:0xf// 000000006244: 0A0C46FA FF015018
	v_mfma_f32_16x16x32_fp8_fp8 v[12:15], a[32:33], a[24:25], 0// 00000000624C: D3F3000C 1A023120
	buffer_load_dwordx4 a[68:71], v40, s[84:87], 0 offen offset:1024// 000000006254: E05C1400 80954428
	v_mfma_f32_16x16x32_fp8_fp8 v[12:15], a[34:35], a[26:27], v[12:15]// 00000000625C: D3F3000C 1C323522
	v_mfma_f32_16x16x32_fp8_fp8 v[12:15], a[36:37], a[28:29], v[12:15]// 000000006264: D3F3000C 1C323924
	v_mfma_f32_16x16x32_fp8_fp8 v[12:15], a[38:39], a[30:31], v[12:15]// 00000000626C: D3F3000C 1C323D26
	v_fma_f32 v44, v8, v4, v44                                 // 000000006274: D1CB002C 04B20908
	v_fma_f32 v45, v9, v4, v45                                 // 00000000627C: D1CB002D 04B60909
	v_fma_f32 v46, v10, v4, v46                                // 000000006284: D1CB002E 04BA090A
	v_fma_f32 v47, v11, v4, v47                                // 00000000628C: D1CB002F 04BE090B
	s_waitcnt vmcnt(7)                                         // 000000006294: BF8C0F77
	v_mul_f32_dpp v4, v24, v34 row_newbcast:0 row_mask:0xf bank_mask:0xf// 000000006298: 0A0844FA FF015018
	v_mfma_f32_16x16x32_fp8_fp8 v[8:11], a[40:41], a[16:17], 0 // 0000000062A0: D3F30008 1A022128
	buffer_load_dwordx4 a[72:75], v41, s[84:87], 0 offen       // 0000000062A8: E05C1000 80954829
	v_mfma_f32_16x16x32_fp8_fp8 v[8:11], a[42:43], a[18:19], v[8:11]// 0000000062B0: D3F30008 1C22252A
	v_mfma_f32_16x16x32_fp8_fp8 v[8:11], a[44:45], a[20:21], v[8:11]// 0000000062B8: D3F30008 1C22292C
	v_mfma_f32_16x16x32_fp8_fp8 v[8:11], a[46:47], a[22:23], v[8:11]// 0000000062C0: D3F30008 1C222D2E
	v_fma_f32 v48, v12, v6, v48                                // 0000000062C8: D1CB0030 04C20D0C
	v_fma_f32 v49, v13, v6, v49                                // 0000000062D0: D1CB0031 04C60D0D
	v_fma_f32 v50, v14, v6, v50                                // 0000000062D8: D1CB0032 04CA0D0E
	v_fma_f32 v51, v15, v6, v51                                // 0000000062E0: D1CB0033 04CE0D0F
	v_mul_f32_dpp v6, v24, v35 row_newbcast:0 row_mask:0xf bank_mask:0xf// 0000000062E8: 0A0C46FA FF015018
	v_mfma_f32_16x16x32_fp8_fp8 v[12:15], a[40:41], a[24:25], 0// 0000000062F0: D3F3000C 1A023128
	buffer_load_dwordx4 a[76:79], v41, s[84:87], 0 offen offset:1024// 0000000062F8: E05C1400 80954C29
	v_mfma_f32_16x16x32_fp8_fp8 v[12:15], a[42:43], a[26:27], v[12:15]// 000000006300: D3F3000C 1C32352A
	v_mfma_f32_16x16x32_fp8_fp8 v[12:15], a[44:45], a[28:29], v[12:15]// 000000006308: D3F3000C 1C32392C
	v_mfma_f32_16x16x32_fp8_fp8 v[12:15], a[46:47], a[30:31], v[12:15]// 000000006310: D3F3000C 1C323D2E
	v_fma_f32 v52, v8, v4, v52                                 // 000000006318: D1CB0034 04D20908
	v_fma_f32 v53, v9, v4, v53                                 // 000000006320: D1CB0035 04D60909
	v_fma_f32 v54, v10, v4, v54                                // 000000006328: D1CB0036 04DA090A
	v_fma_f32 v55, v11, v4, v55                                // 000000006330: D1CB0037 04DE090B
	s_waitcnt vmcnt(7)                                         // 000000006338: BF8C0F77
	v_mul_f32_dpp v4, v24, v34 row_newbcast:1 row_mask:0xf bank_mask:0xf// 00000000633C: 0A0844FA FF015118
	v_mfma_f32_16x16x32_fp8_fp8 v[8:11], a[48:49], a[16:17], 0 // 000000006344: D3F30008 1A022130
	buffer_load_dwordx4 a[80:83], v42, s[84:87], 0 offen       // 00000000634C: E05C1000 8095502A
	v_mfma_f32_16x16x32_fp8_fp8 v[8:11], a[50:51], a[18:19], v[8:11]// 000000006354: D3F30008 1C222532
	v_mfma_f32_16x16x32_fp8_fp8 v[8:11], a[52:53], a[20:21], v[8:11]// 00000000635C: D3F30008 1C222934
	v_mfma_f32_16x16x32_fp8_fp8 v[8:11], a[54:55], a[22:23], v[8:11]// 000000006364: D3F30008 1C222D36
	v_fma_f32 v56, v12, v6, v56                                // 00000000636C: D1CB0038 04E20D0C
	v_fma_f32 v57, v13, v6, v57                                // 000000006374: D1CB0039 04E60D0D
	v_fma_f32 v58, v14, v6, v58                                // 00000000637C: D1CB003A 04EA0D0E
	v_fma_f32 v59, v15, v6, v59                                // 000000006384: D1CB003B 04EE0D0F
	v_mul_f32_dpp v6, v24, v35 row_newbcast:1 row_mask:0xf bank_mask:0xf// 00000000638C: 0A0C46FA FF015118
	v_mfma_f32_16x16x32_fp8_fp8 v[12:15], a[48:49], a[24:25], 0// 000000006394: D3F3000C 1A023130
	buffer_load_dwordx4 a[84:87], v42, s[84:87], 0 offen offset:1024// 00000000639C: E05C1400 8095542A
	v_mfma_f32_16x16x32_fp8_fp8 v[12:15], a[50:51], a[26:27], v[12:15]// 0000000063A4: D3F3000C 1C323532
	v_mfma_f32_16x16x32_fp8_fp8 v[12:15], a[52:53], a[28:29], v[12:15]// 0000000063AC: D3F3000C 1C323934
	v_mfma_f32_16x16x32_fp8_fp8 v[12:15], a[54:55], a[30:31], v[12:15]// 0000000063B4: D3F3000C 1C323D36
	v_fma_f32 v60, v8, v4, v60                                 // 0000000063BC: D1CB003C 04F20908
	v_fma_f32 v61, v9, v4, v61                                 // 0000000063C4: D1CB003D 04F60909
	v_fma_f32 v62, v10, v4, v62                                // 0000000063CC: D1CB003E 04FA090A
	v_fma_f32 v63, v11, v4, v63                                // 0000000063D4: D1CB003F 04FE090B
	s_waitcnt vmcnt(7)                                         // 0000000063DC: BF8C0F77
	v_mul_f32_dpp v4, v24, v34 row_newbcast:1 row_mask:0xf bank_mask:0xf// 0000000063E0: 0A0844FA FF015118
	v_mfma_f32_16x16x32_fp8_fp8 v[8:11], a[56:57], a[16:17], 0 // 0000000063E8: D3F30008 1A022138
	buffer_load_dwordx4 a[88:91], v43, s[84:87], 0 offen       // 0000000063F0: E05C1000 8095582B
	v_mfma_f32_16x16x32_fp8_fp8 v[8:11], a[58:59], a[18:19], v[8:11]// 0000000063F8: D3F30008 1C22253A
	v_mfma_f32_16x16x32_fp8_fp8 v[8:11], a[60:61], a[20:21], v[8:11]// 000000006400: D3F30008 1C22293C
	v_mfma_f32_16x16x32_fp8_fp8 v[8:11], a[62:63], a[22:23], v[8:11]// 000000006408: D3F30008 1C222D3E
	v_fma_f32 v64, v12, v6, v64                                // 000000006410: D1CB0040 05020D0C
	v_fma_f32 v65, v13, v6, v65                                // 000000006418: D1CB0041 05060D0D
	v_fma_f32 v66, v14, v6, v66                                // 000000006420: D1CB0042 050A0D0E
	v_fma_f32 v67, v15, v6, v67                                // 000000006428: D1CB0043 050E0D0F
	v_mul_f32_dpp v6, v24, v35 row_newbcast:1 row_mask:0xf bank_mask:0xf// 000000006430: 0A0C46FA FF015118
	v_mfma_f32_16x16x32_fp8_fp8 v[12:15], a[56:57], a[24:25], 0// 000000006438: D3F3000C 1A023138
	buffer_load_dwordx4 a[92:95], v43, s[84:87], 0 offen offset:1024// 000000006440: E05C1400 80955C2B
	buffer_load_dword v36, s[20:23], 0 offen lds               // 000000006448: E0511000 80050024
	s_add_u32 m0, 0x100, s49                                   // 000000006450: 807C31FF 00000100
	v_mfma_f32_16x16x32_fp8_fp8 v[12:15], a[58:59], a[26:27], v[12:15]// 000000006458: D3F3000C 1C32353A
	s_add_u32 s60, 0x80, s80                                   // 000000006460: 803C50FF 00000080
	s_cmp_lt_u32 s60, s81                                      // 000000006468: BF0A513C
	s_cselect_b32 s83, s83, 0                                  // 00000000646C: 85538053
	s_cselect_b32 s4, s4, 0                                    // 000000006470: 85048004
	v_mfma_f32_16x16x32_fp8_fp8 v[12:15], a[60:61], a[28:29], v[12:15]// 000000006474: D3F3000C 1C32393C
	buffer_load_dword v37, s[20:23], 0 offen lds               // 00000000647C: E0511000 80050025
	s_add_u32 m0, 0x200, s49                                   // 000000006484: 807C31FF 00000200
	s_add_u32 s32, s4, s32                                     // 00000000648C: 80202004
	s_addc_u32 s33, 0, s33                                     // 000000006490: 82212180
	v_mfma_f32_16x16x32_fp8_fp8 v[12:15], a[62:63], a[30:31], v[12:15]// 000000006494: D3F3000C 1C323D3E
	v_fma_f32 v68, v8, v4, v68                                 // 00000000649C: D1CB0044 05120908
	v_fma_f32 v69, v9, v4, v69                                 // 0000000064A4: D1CB0045 05160909
	v_fma_f32 v70, v10, v4, v70                                // 0000000064AC: D1CB0046 051A090A
	v_fma_f32 v71, v11, v4, v71                                // 0000000064B4: D1CB0047 051E090B
	v_fma_f32 v72, v12, v6, v72                                // 0000000064BC: D1CB0048 05220D0C
	v_fma_f32 v73, v13, v6, v73                                // 0000000064C4: D1CB0049 05260D0D
	v_fma_f32 v74, v14, v6, v74                                // 0000000064CC: D1CB004A 052A0D0E
	v_fma_f32 v75, v15, v6, v75                                // 0000000064D4: D1CB004B 052E0D0F
	buffer_load_dword v38, s[20:23], 0 offen lds               // 0000000064DC: E0511000 80050026
	s_add_u32 m0, 0x300, s49                                   // 0000000064E4: 807C31FF 00000300
	buffer_load_dword v39, s[20:23], 0 offen lds               // 0000000064EC: E0511000 80050027
	s_add_u32 m0, 0, s48                                       // 0000000064F4: 807C3080
	buffer_load_dword v32, v28, s[28:31], 0 offen              // 0000000064F8: E0501000 8007201C
	buffer_load_dword v33, v29, s[28:31], 0 offen              // 000000006500: E0501000 8007211D
	s_waitcnt vmcnt(6)                                         // 000000006508: BF8C0F76
	v_mul_f32_dpp v4, v27, v34 row_newbcast:0 row_mask:0xf bank_mask:0xf// 00000000650C: 0A0844FA FF01501B
	v_mfma_f32_16x16x32_fp8_fp8 v[8:11], a[64:65], a[16:17], 0 // 000000006514: D3F30008 1A022140
	buffer_load_dword v24, v22, s[32:35], 0 offen              // 00000000651C: E0501000 80081816
	buffer_load_dwordx4 a[32:35], v40, s[24:27], 0 offen       // 000000006524: E05C1000 80862028
	v_mfma_f32_16x16x32_fp8_fp8 v[8:11], a[66:67], a[18:19], v[8:11]// 00000000652C: D3F30008 1C222542
	v_mfma_f32_16x16x32_fp8_fp8 v[8:11], a[68:69], a[20:21], v[8:11]// 000000006534: D3F30008 1C222944
	ds_read_b128 a[0:3], v2                                    // 00000000653C: DBFE0000 00000002
	ds_read_b128 a[4:7], v2 offset:64                          // 000000006544: DBFE0040 04000002
	v_mfma_f32_16x16x32_fp8_fp8 v[8:11], a[70:71], a[22:23], v[8:11]// 00000000654C: D3F30008 1C222D46
	v_mfma_f32_16x16x32_fp8_fp8 v[12:15], a[72:73], a[16:17], 0// 000000006554: D3F3000C 1A022148
	buffer_load_dwordx4 a[36:39], v40, s[24:27], 0 offen offset:1024// 00000000655C: E05C1400 80862428
	v_mfma_f32_16x16x32_fp8_fp8 v[12:15], a[74:75], a[18:19], v[12:15]// 000000006564: D3F3000C 1C32254A
	v_mfma_f32_16x16x32_fp8_fp8 v[12:15], a[76:77], a[20:21], v[12:15]// 00000000656C: D3F3000C 1C32294C
	ds_read_b128 a[8:11], v2 offset:512                        // 000000006574: DBFE0200 08000002
	ds_read_b128 a[12:15], v2 offset:576                       // 00000000657C: DBFE0240 0C000002
	v_mfma_f32_16x16x32_fp8_fp8 v[12:15], a[78:79], a[22:23], v[12:15]// 000000006584: D3F3000C 1C322D4E
	v_fma_f32 v76, v8, v4, v76                                 // 00000000658C: D1CB004C 05320908
	v_fma_f32 v77, v9, v4, v77                                 // 000000006594: D1CB004D 05360909
	v_fma_f32 v78, v10, v4, v78                                // 00000000659C: D1CB004E 053A090A
	v_fma_f32 v79, v11, v4, v79                                // 0000000065A4: D1CB004F 053E090B
	v_mul_f32_dpp v6, v27, v34 row_newbcast:1 row_mask:0xf bank_mask:0xf// 0000000065AC: 0A0C44FA FF01511B
	v_mfma_f32_16x16x32_fp8_fp8 v[8:11], a[80:81], a[16:17], 0 // 0000000065B4: D3F30008 1A022150
	buffer_load_dwordx4 a[40:43], v41, s[24:27], 0 offen       // 0000000065BC: E05C1000 80862829
	v_mfma_f32_16x16x32_fp8_fp8 v[8:11], a[82:83], a[18:19], v[8:11]// 0000000065C4: D3F30008 1C222552
	v_mfma_f32_16x16x32_fp8_fp8 v[8:11], a[84:85], a[20:21], v[8:11]// 0000000065CC: D3F30008 1C222954
	v_mfma_f32_16x16x32_fp8_fp8 v[8:11], a[86:87], a[22:23], v[8:11]// 0000000065D4: D3F30008 1C222D56
	v_fma_f32 v84, v12, v4, v84                                // 0000000065DC: D1CB0054 0552090C
	v_fma_f32 v85, v13, v4, v85                                // 0000000065E4: D1CB0055 0556090D
	v_fma_f32 v86, v14, v4, v86                                // 0000000065EC: D1CB0056 055A090E
	v_fma_f32 v87, v15, v4, v87                                // 0000000065F4: D1CB0057 055E090F
	v_mfma_f32_16x16x32_fp8_fp8 v[12:15], a[88:89], a[16:17], 0// 0000000065FC: D3F3000C 1A022158
	buffer_load_dwordx4 a[44:47], v41, s[24:27], 0 offen offset:1024// 000000006604: E05C1400 80862C29
	v_mfma_f32_16x16x32_fp8_fp8 v[12:15], a[90:91], a[18:19], v[12:15]// 00000000660C: D3F3000C 1C32255A
	v_mfma_f32_16x16x32_fp8_fp8 v[12:15], a[92:93], a[20:21], v[12:15]// 000000006614: D3F3000C 1C32295C
	v_mfma_f32_16x16x32_fp8_fp8 v[12:15], a[94:95], a[22:23], v[12:15]// 00000000661C: D3F3000C 1C322D5E
	v_fma_f32 v92, v8, v6, v92                                 // 000000006624: D1CB005C 05720D08
	v_fma_f32 v93, v9, v6, v93                                 // 00000000662C: D1CB005D 05760D09
	v_fma_f32 v94, v10, v6, v94                                // 000000006634: D1CB005E 057A0D0A
	v_fma_f32 v95, v11, v6, v95                                // 00000000663C: D1CB005F 057E0D0B
	v_mul_f32_dpp v4, v27, v35 row_newbcast:0 row_mask:0xf bank_mask:0xf// 000000006644: 0A0846FA FF01501B
	v_mfma_f32_16x16x32_fp8_fp8 v[8:11], a[64:65], a[24:25], 0 // 00000000664C: D3F30008 1A023140
	buffer_load_dwordx4 a[48:51], v42, s[24:27], 0 offen       // 000000006654: E05C1000 8086302A
	v_mfma_f32_16x16x32_fp8_fp8 v[8:11], a[66:67], a[26:27], v[8:11]// 00000000665C: D3F30008 1C223542
	v_mfma_f32_16x16x32_fp8_fp8 v[8:11], a[68:69], a[28:29], v[8:11]// 000000006664: D3F30008 1C223944
	v_mfma_f32_16x16x32_fp8_fp8 v[8:11], a[70:71], a[30:31], v[8:11]// 00000000666C: D3F30008 1C223D46
	v_fma_f32 v100, v12, v6, v100                              // 000000006674: D1CB0064 05920D0C
	v_fma_f32 v101, v13, v6, v101                              // 00000000667C: D1CB0065 05960D0D
	v_fma_f32 v102, v14, v6, v102                              // 000000006684: D1CB0066 059A0D0E
	v_fma_f32 v103, v15, v6, v103                              // 00000000668C: D1CB0067 059E0D0F
	v_mfma_f32_16x16x32_fp8_fp8 v[12:15], a[72:73], a[24:25], 0// 000000006694: D3F3000C 1A023148
	buffer_load_dwordx4 a[52:55], v42, s[24:27], 0 offen offset:1024// 00000000669C: E05C1400 8086342A
	v_mfma_f32_16x16x32_fp8_fp8 v[12:15], a[74:75], a[26:27], v[12:15]// 0000000066A4: D3F3000C 1C32354A
	v_mfma_f32_16x16x32_fp8_fp8 v[12:15], a[76:77], a[28:29], v[12:15]// 0000000066AC: D3F3000C 1C32394C
	v_mfma_f32_16x16x32_fp8_fp8 v[12:15], a[78:79], a[30:31], v[12:15]// 0000000066B4: D3F3000C 1C323D4E
	v_fma_f32 v80, v8, v4, v80                                 // 0000000066BC: D1CB0050 05420908
	v_fma_f32 v81, v9, v4, v81                                 // 0000000066C4: D1CB0051 05460909
	v_fma_f32 v82, v10, v4, v82                                // 0000000066CC: D1CB0052 054A090A
	v_fma_f32 v83, v11, v4, v83                                // 0000000066D4: D1CB0053 054E090B
	v_mul_f32_dpp v6, v27, v35 row_newbcast:1 row_mask:0xf bank_mask:0xf// 0000000066DC: 0A0C46FA FF01511B
	v_mfma_f32_16x16x32_fp8_fp8 v[8:11], a[80:81], a[24:25], 0 // 0000000066E4: D3F30008 1A023150
	buffer_load_dwordx4 a[56:59], v43, s[24:27], 0 offen       // 0000000066EC: E05C1000 8086382B
	v_mfma_f32_16x16x32_fp8_fp8 v[8:11], a[82:83], a[26:27], v[8:11]// 0000000066F4: D3F30008 1C223552
	v_mfma_f32_16x16x32_fp8_fp8 v[8:11], a[84:85], a[28:29], v[8:11]// 0000000066FC: D3F30008 1C223954
	s_add_u32 s60, 0x180, s80                                  // 000000006704: 803C50FF 00000180
	s_cmp_lt_u32 s60, s81                                      // 00000000670C: BF0A513C
	s_cselect_b32 s57, s57, 0                                  // 000000006710: 85398039
	s_cselect_b32 s3, s3, 0                                    // 000000006714: 85038003
	v_mfma_f32_16x16x32_fp8_fp8 v[8:11], a[86:87], a[30:31], v[8:11]// 000000006718: D3F30008 1C223D56
	s_add_u32 s60, 0x100, s80                                  // 000000006720: 803C50FF 00000100
	s_cmp_lt_u32 s60, s81                                      // 000000006728: BF0A513C
	s_cselect_b32 s58, s58, 0                                  // 00000000672C: 853A803A
	v_fma_f32 v88, v12, v4, v88                                // 000000006730: D1CB0058 0562090C
	v_fma_f32 v89, v13, v4, v89                                // 000000006738: D1CB0059 0566090D
	v_fma_f32 v90, v14, v4, v90                                // 000000006740: D1CB005A 056A090E
	v_fma_f32 v91, v15, v4, v91                                // 000000006748: D1CB005B 056E090F
	v_mfma_f32_16x16x32_fp8_fp8 v[12:15], a[88:89], a[24:25], 0// 000000006750: D3F3000C 1A023158
	buffer_load_dwordx4 a[60:63], v43, s[24:27], 0 offen offset:1024// 000000006758: E05C1400 80863C2B
	s_add_u32 s24, s58, s24                                    // 000000006760: 8018183A
	s_addc_u32 s25, 0, s25                                     // 000000006764: 82191980
	v_mfma_f32_16x16x32_fp8_fp8 v[12:15], a[90:91], a[26:27], v[12:15]// 000000006768: D3F3000C 1C32355A
	s_add_u32 s20, s57, s20                                    // 000000006770: 80141439
	s_addc_u32 s21, 0, s21                                     // 000000006774: 82151580
	s_add_u32 s28, s3, s28                                     // 000000006778: 801C1C03
	s_addc_u32 s29, 0, s29                                     // 00000000677C: 821D1D80
	v_mfma_f32_16x16x32_fp8_fp8 v[12:15], a[92:93], a[28:29], v[12:15]// 000000006780: D3F3000C 1C32395C
	s_add_u32 s84, s83, s84                                    // 000000006788: 80545453
	s_addc_u32 s85, 0, s85                                     // 00000000678C: 82555580
	v_mfma_f32_16x16x32_fp8_fp8 v[12:15], a[94:95], a[30:31], v[12:15]// 000000006790: D3F3000C 1C323D5E
	v_fma_f32 v96, v8, v6, v96                                 // 000000006798: D1CB0060 05820D08
	v_fma_f32 v97, v9, v6, v97                                 // 0000000067A0: D1CB0061 05860D09
	v_fma_f32 v98, v10, v6, v98                                // 0000000067A8: D1CB0062 058A0D0A
	v_fma_f32 v99, v11, v6, v99                                // 0000000067B0: D1CB0063 058E0D0B
	v_fma_f32 v104, v12, v6, v104                              // 0000000067B8: D1CB0068 05A20D0C
	v_fma_f32 v105, v13, v6, v105                              // 0000000067C0: D1CB0069 05A60D0D
	v_fma_f32 v106, v14, v6, v106                              // 0000000067C8: D1CB006A 05AA0D0E
	v_fma_f32 v107, v15, v6, v107                              // 0000000067D0: D1CB006B 05AE0D0F
	s_addk_i32 s80, 0x80                                       // 0000000067D8: B7500080
	s_cmp_lt_i32 s80, s81                                      // 0000000067DC: BF045150
	s_cbranch_scc0 label_0F7D                                  // 0000000067E0: BF840001
	s_branch label_0C88                                        // 0000000067E4: BF82FD0B

00000000000067e8 <label_0F7D>:
	s_cmp_eq_u32 s88, 0                                        // 0000000067E8: BF068058
	s_cbranch_scc0 label_144E                                  // 0000000067EC: BF8404CF
	s_cmp_eq_u32 s89, 0                                        // 0000000067F0: BF068059
	s_cbranch_scc1 label_10C6                                  // 0000000067F4: BF850145
	v_mov_b32_e32 v8, v1                                       // 0000000067F8: 7E100301
	v_mov_b32_e32 v9, v1                                       // 0000000067FC: 7E120301
	s_mov_b32 s60, s6                                          // 000000006800: BEBC0006
	s_mov_b32 s61, s6                                          // 000000006804: BEBD0006
	v_pk_mul_f32 v[4:5], v[44:45], v[44:45]                    // 000000006808: D3B14004 1802592C
	v_pk_mul_f32 v[6:7], v[46:47], v[46:47]                    // 000000006810: D3B14006 18025D2E
	v_pk_fma_f32 v[4:5], v[4:5], s[78:79], v[8:9]              // 000000006818: D3B04004 1C209D04
	v_pk_fma_f32 v[6:7], v[6:7], s[78:79], v[8:9]              // 000000006820: D3B04006 1C209D06
	v_pk_mul_f32 v[4:5], v[4:5], v[44:45]                      // 000000006828: D3B14004 18025904
	v_pk_mul_f32 v[6:7], v[6:7], v[46:47]                      // 000000006830: D3B14006 18025D06
	v_pk_mul_f32 v[4:5], v[4:5], s[60:61]                      // 000000006838: D3B14004 18007904
	v_pk_mul_f32 v[6:7], v[6:7], s[60:61]                      // 000000006840: D3B14006 18007906
	v_exp_f32_e32 v4, v4                                       // 000000006848: 7E084104
	v_exp_f32_e32 v5, v5                                       // 00000000684C: 7E0A4105
	v_exp_f32_e32 v6, v6                                       // 000000006850: 7E0C4106
	v_exp_f32_e32 v7, v7                                       // 000000006854: 7E0E4107
	v_add_f32_e64 v4, v4, 1.0                                  // 000000006858: D1010004 0001E504
	v_add_f32_e64 v5, v5, 1.0                                  // 000000006860: D1010005 0001E505
	v_add_f32_e64 v6, v6, 1.0                                  // 000000006868: D1010006 0001E506
	v_add_f32_e64 v7, v7, 1.0                                  // 000000006870: D1010007 0001E507
	v_rcp_f32_e32 v4, v4                                       // 000000006878: 7E084504
	v_rcp_f32_e32 v5, v5                                       // 00000000687C: 7E0A4505
	v_rcp_f32_e32 v6, v6                                       // 000000006880: 7E0C4506
	v_rcp_f32_e32 v7, v7                                       // 000000006884: 7E0E4507
	v_mul_f32_e32 v44, v44, v4                                 // 000000006888: 0A58092C
	v_mul_f32_e32 v45, v45, v5                                 // 00000000688C: 0A5A0B2D
	v_mul_f32_e32 v46, v46, v6                                 // 000000006890: 0A5C0D2E
	v_mul_f32_e32 v47, v47, v7                                 // 000000006894: 0A5E0F2F
	v_mul_f32_e32 v44, v44, v76                                // 000000006898: 0A58992C
	v_mul_f32_e32 v45, v45, v77                                // 00000000689C: 0A5A9B2D
	v_mul_f32_e32 v46, v46, v78                                // 0000000068A0: 0A5C9D2E
	v_mul_f32_e32 v47, v47, v79                                // 0000000068A4: 0A5E9F2F
	v_pk_mul_f32 v[4:5], v[48:49], v[48:49]                    // 0000000068A8: D3B14004 18026130
	v_pk_mul_f32 v[6:7], v[50:51], v[50:51]                    // 0000000068B0: D3B14006 18026532
	v_pk_fma_f32 v[4:5], v[4:5], s[78:79], v[8:9]              // 0000000068B8: D3B04004 1C209D04
	v_pk_fma_f32 v[6:7], v[6:7], s[78:79], v[8:9]              // 0000000068C0: D3B04006 1C209D06
	v_pk_mul_f32 v[4:5], v[4:5], v[48:49]                      // 0000000068C8: D3B14004 18026104
	v_pk_mul_f32 v[6:7], v[6:7], v[50:51]                      // 0000000068D0: D3B14006 18026506
	v_pk_mul_f32 v[4:5], v[4:5], s[60:61]                      // 0000000068D8: D3B14004 18007904
	v_pk_mul_f32 v[6:7], v[6:7], s[60:61]                      // 0000000068E0: D3B14006 18007906
	v_exp_f32_e32 v4, v4                                       // 0000000068E8: 7E084104
	v_exp_f32_e32 v5, v5                                       // 0000000068EC: 7E0A4105
	v_exp_f32_e32 v6, v6                                       // 0000000068F0: 7E0C4106
	v_exp_f32_e32 v7, v7                                       // 0000000068F4: 7E0E4107
	v_add_f32_e64 v4, v4, 1.0                                  // 0000000068F8: D1010004 0001E504
	v_add_f32_e64 v5, v5, 1.0                                  // 000000006900: D1010005 0001E505
	v_add_f32_e64 v6, v6, 1.0                                  // 000000006908: D1010006 0001E506
	v_add_f32_e64 v7, v7, 1.0                                  // 000000006910: D1010007 0001E507
	v_rcp_f32_e32 v4, v4                                       // 000000006918: 7E084504
	v_rcp_f32_e32 v5, v5                                       // 00000000691C: 7E0A4505
	v_rcp_f32_e32 v6, v6                                       // 000000006920: 7E0C4506
	v_rcp_f32_e32 v7, v7                                       // 000000006924: 7E0E4507
	v_mul_f32_e32 v48, v48, v4                                 // 000000006928: 0A600930
	v_mul_f32_e32 v49, v49, v5                                 // 00000000692C: 0A620B31
	v_mul_f32_e32 v50, v50, v6                                 // 000000006930: 0A640D32
	v_mul_f32_e32 v51, v51, v7                                 // 000000006934: 0A660F33
	v_mul_f32_e32 v48, v48, v80                                // 000000006938: 0A60A130
	v_mul_f32_e32 v49, v49, v81                                // 00000000693C: 0A62A331
	v_mul_f32_e32 v50, v50, v82                                // 000000006940: 0A64A532
	v_mul_f32_e32 v51, v51, v83                                // 000000006944: 0A66A733
	v_pk_mul_f32 v[4:5], v[52:53], v[52:53]                    // 000000006948: D3B14004 18026934
	v_pk_mul_f32 v[6:7], v[54:55], v[54:55]                    // 000000006950: D3B14006 18026D36
	v_pk_fma_f32 v[4:5], v[4:5], s[78:79], v[8:9]              // 000000006958: D3B04004 1C209D04
	v_pk_fma_f32 v[6:7], v[6:7], s[78:79], v[8:9]              // 000000006960: D3B04006 1C209D06
	v_pk_mul_f32 v[4:5], v[4:5], v[52:53]                      // 000000006968: D3B14004 18026904
	v_pk_mul_f32 v[6:7], v[6:7], v[54:55]                      // 000000006970: D3B14006 18026D06
	v_pk_mul_f32 v[4:5], v[4:5], s[60:61]                      // 000000006978: D3B14004 18007904
	v_pk_mul_f32 v[6:7], v[6:7], s[60:61]                      // 000000006980: D3B14006 18007906
	v_exp_f32_e32 v4, v4                                       // 000000006988: 7E084104
	v_exp_f32_e32 v5, v5                                       // 00000000698C: 7E0A4105
	v_exp_f32_e32 v6, v6                                       // 000000006990: 7E0C4106
	v_exp_f32_e32 v7, v7                                       // 000000006994: 7E0E4107
	v_add_f32_e64 v4, v4, 1.0                                  // 000000006998: D1010004 0001E504
	v_add_f32_e64 v5, v5, 1.0                                  // 0000000069A0: D1010005 0001E505
	v_add_f32_e64 v6, v6, 1.0                                  // 0000000069A8: D1010006 0001E506
	v_add_f32_e64 v7, v7, 1.0                                  // 0000000069B0: D1010007 0001E507
	v_rcp_f32_e32 v4, v4                                       // 0000000069B8: 7E084504
	v_rcp_f32_e32 v5, v5                                       // 0000000069BC: 7E0A4505
	v_rcp_f32_e32 v6, v6                                       // 0000000069C0: 7E0C4506
	v_rcp_f32_e32 v7, v7                                       // 0000000069C4: 7E0E4507
	v_mul_f32_e32 v52, v52, v4                                 // 0000000069C8: 0A680934
	v_mul_f32_e32 v53, v53, v5                                 // 0000000069CC: 0A6A0B35
	v_mul_f32_e32 v54, v54, v6                                 // 0000000069D0: 0A6C0D36
	v_mul_f32_e32 v55, v55, v7                                 // 0000000069D4: 0A6E0F37
	v_mul_f32_e32 v52, v52, v84                                // 0000000069D8: 0A68A934
	v_mul_f32_e32 v53, v53, v85                                // 0000000069DC: 0A6AAB35
	v_mul_f32_e32 v54, v54, v86                                // 0000000069E0: 0A6CAD36
	v_mul_f32_e32 v55, v55, v87                                // 0000000069E4: 0A6EAF37
	v_pk_mul_f32 v[4:5], v[56:57], v[56:57]                    // 0000000069E8: D3B14004 18027138
	v_pk_mul_f32 v[6:7], v[58:59], v[58:59]                    // 0000000069F0: D3B14006 1802753A
	v_pk_fma_f32 v[4:5], v[4:5], s[78:79], v[8:9]              // 0000000069F8: D3B04004 1C209D04
	v_pk_fma_f32 v[6:7], v[6:7], s[78:79], v[8:9]              // 000000006A00: D3B04006 1C209D06
	v_pk_mul_f32 v[4:5], v[4:5], v[56:57]                      // 000000006A08: D3B14004 18027104
	v_pk_mul_f32 v[6:7], v[6:7], v[58:59]                      // 000000006A10: D3B14006 18027506
	v_pk_mul_f32 v[4:5], v[4:5], s[60:61]                      // 000000006A18: D3B14004 18007904
	v_pk_mul_f32 v[6:7], v[6:7], s[60:61]                      // 000000006A20: D3B14006 18007906
	v_exp_f32_e32 v4, v4                                       // 000000006A28: 7E084104
	v_exp_f32_e32 v5, v5                                       // 000000006A2C: 7E0A4105
	v_exp_f32_e32 v6, v6                                       // 000000006A30: 7E0C4106
	v_exp_f32_e32 v7, v7                                       // 000000006A34: 7E0E4107
	v_add_f32_e64 v4, v4, 1.0                                  // 000000006A38: D1010004 0001E504
	v_add_f32_e64 v5, v5, 1.0                                  // 000000006A40: D1010005 0001E505
	v_add_f32_e64 v6, v6, 1.0                                  // 000000006A48: D1010006 0001E506
	v_add_f32_e64 v7, v7, 1.0                                  // 000000006A50: D1010007 0001E507
	v_rcp_f32_e32 v4, v4                                       // 000000006A58: 7E084504
	v_rcp_f32_e32 v5, v5                                       // 000000006A5C: 7E0A4505
	v_rcp_f32_e32 v6, v6                                       // 000000006A60: 7E0C4506
	v_rcp_f32_e32 v7, v7                                       // 000000006A64: 7E0E4507
	v_mul_f32_e32 v56, v56, v4                                 // 000000006A68: 0A700938
	v_mul_f32_e32 v57, v57, v5                                 // 000000006A6C: 0A720B39
	v_mul_f32_e32 v58, v58, v6                                 // 000000006A70: 0A740D3A
	v_mul_f32_e32 v59, v59, v7                                 // 000000006A74: 0A760F3B
	v_mul_f32_e32 v56, v56, v88                                // 000000006A78: 0A70B138
	v_mul_f32_e32 v57, v57, v89                                // 000000006A7C: 0A72B339
	v_mul_f32_e32 v58, v58, v90                                // 000000006A80: 0A74B53A
	v_mul_f32_e32 v59, v59, v91                                // 000000006A84: 0A76B73B
	v_pk_mul_f32 v[4:5], v[60:61], v[60:61]                    // 000000006A88: D3B14004 1802793C
	v_pk_mul_f32 v[6:7], v[62:63], v[62:63]                    // 000000006A90: D3B14006 18027D3E
	v_pk_fma_f32 v[4:5], v[4:5], s[78:79], v[8:9]              // 000000006A98: D3B04004 1C209D04
	v_pk_fma_f32 v[6:7], v[6:7], s[78:79], v[8:9]              // 000000006AA0: D3B04006 1C209D06
	v_pk_mul_f32 v[4:5], v[4:5], v[60:61]                      // 000000006AA8: D3B14004 18027904
	v_pk_mul_f32 v[6:7], v[6:7], v[62:63]                      // 000000006AB0: D3B14006 18027D06
	v_pk_mul_f32 v[4:5], v[4:5], s[60:61]                      // 000000006AB8: D3B14004 18007904
	v_pk_mul_f32 v[6:7], v[6:7], s[60:61]                      // 000000006AC0: D3B14006 18007906
	v_exp_f32_e32 v4, v4                                       // 000000006AC8: 7E084104
	v_exp_f32_e32 v5, v5                                       // 000000006ACC: 7E0A4105
	v_exp_f32_e32 v6, v6                                       // 000000006AD0: 7E0C4106
	v_exp_f32_e32 v7, v7                                       // 000000006AD4: 7E0E4107
	v_add_f32_e64 v4, v4, 1.0                                  // 000000006AD8: D1010004 0001E504
	v_add_f32_e64 v5, v5, 1.0                                  // 000000006AE0: D1010005 0001E505
	v_add_f32_e64 v6, v6, 1.0                                  // 000000006AE8: D1010006 0001E506
	v_add_f32_e64 v7, v7, 1.0                                  // 000000006AF0: D1010007 0001E507
	v_rcp_f32_e32 v4, v4                                       // 000000006AF8: 7E084504
	v_rcp_f32_e32 v5, v5                                       // 000000006AFC: 7E0A4505
	v_rcp_f32_e32 v6, v6                                       // 000000006B00: 7E0C4506
	v_rcp_f32_e32 v7, v7                                       // 000000006B04: 7E0E4507
	v_mul_f32_e32 v60, v60, v4                                 // 000000006B08: 0A78093C
	v_mul_f32_e32 v61, v61, v5                                 // 000000006B0C: 0A7A0B3D
	v_mul_f32_e32 v62, v62, v6                                 // 000000006B10: 0A7C0D3E
	v_mul_f32_e32 v63, v63, v7                                 // 000000006B14: 0A7E0F3F
	v_mul_f32_e32 v60, v60, v92                                // 000000006B18: 0A78B93C
	v_mul_f32_e32 v61, v61, v93                                // 000000006B1C: 0A7ABB3D
	v_mul_f32_e32 v62, v62, v94                                // 000000006B20: 0A7CBD3E
	v_mul_f32_e32 v63, v63, v95                                // 000000006B24: 0A7EBF3F
	v_pk_mul_f32 v[4:5], v[64:65], v[64:65]                    // 000000006B28: D3B14004 18028140
	v_pk_mul_f32 v[6:7], v[66:67], v[66:67]                    // 000000006B30: D3B14006 18028542
	v_pk_fma_f32 v[4:5], v[4:5], s[78:79], v[8:9]              // 000000006B38: D3B04004 1C209D04
	v_pk_fma_f32 v[6:7], v[6:7], s[78:79], v[8:9]              // 000000006B40: D3B04006 1C209D06
	v_pk_mul_f32 v[4:5], v[4:5], v[64:65]                      // 000000006B48: D3B14004 18028104
	v_pk_mul_f32 v[6:7], v[6:7], v[66:67]                      // 000000006B50: D3B14006 18028506
	v_pk_mul_f32 v[4:5], v[4:5], s[60:61]                      // 000000006B58: D3B14004 18007904
	v_pk_mul_f32 v[6:7], v[6:7], s[60:61]                      // 000000006B60: D3B14006 18007906
	v_exp_f32_e32 v4, v4                                       // 000000006B68: 7E084104
	v_exp_f32_e32 v5, v5                                       // 000000006B6C: 7E0A4105
	v_exp_f32_e32 v6, v6                                       // 000000006B70: 7E0C4106
	v_exp_f32_e32 v7, v7                                       // 000000006B74: 7E0E4107
	v_add_f32_e64 v4, v4, 1.0                                  // 000000006B78: D1010004 0001E504
	v_add_f32_e64 v5, v5, 1.0                                  // 000000006B80: D1010005 0001E505
	v_add_f32_e64 v6, v6, 1.0                                  // 000000006B88: D1010006 0001E506
	v_add_f32_e64 v7, v7, 1.0                                  // 000000006B90: D1010007 0001E507
	v_rcp_f32_e32 v4, v4                                       // 000000006B98: 7E084504
	v_rcp_f32_e32 v5, v5                                       // 000000006B9C: 7E0A4505
	v_rcp_f32_e32 v6, v6                                       // 000000006BA0: 7E0C4506
	v_rcp_f32_e32 v7, v7                                       // 000000006BA4: 7E0E4507
	v_mul_f32_e32 v64, v64, v4                                 // 000000006BA8: 0A800940
	v_mul_f32_e32 v65, v65, v5                                 // 000000006BAC: 0A820B41
	v_mul_f32_e32 v66, v66, v6                                 // 000000006BB0: 0A840D42
	v_mul_f32_e32 v67, v67, v7                                 // 000000006BB4: 0A860F43
	v_mul_f32_e32 v64, v64, v96                                // 000000006BB8: 0A80C140
	v_mul_f32_e32 v65, v65, v97                                // 000000006BBC: 0A82C341
	v_mul_f32_e32 v66, v66, v98                                // 000000006BC0: 0A84C542
	v_mul_f32_e32 v67, v67, v99                                // 000000006BC4: 0A86C743
	v_pk_mul_f32 v[4:5], v[68:69], v[68:69]                    // 000000006BC8: D3B14004 18028944
	v_pk_mul_f32 v[6:7], v[70:71], v[70:71]                    // 000000006BD0: D3B14006 18028D46
	v_pk_fma_f32 v[4:5], v[4:5], s[78:79], v[8:9]              // 000000006BD8: D3B04004 1C209D04
	v_pk_fma_f32 v[6:7], v[6:7], s[78:79], v[8:9]              // 000000006BE0: D3B04006 1C209D06
	v_pk_mul_f32 v[4:5], v[4:5], v[68:69]                      // 000000006BE8: D3B14004 18028904
	v_pk_mul_f32 v[6:7], v[6:7], v[70:71]                      // 000000006BF0: D3B14006 18028D06
	v_pk_mul_f32 v[4:5], v[4:5], s[60:61]                      // 000000006BF8: D3B14004 18007904
	v_pk_mul_f32 v[6:7], v[6:7], s[60:61]                      // 000000006C00: D3B14006 18007906
	v_exp_f32_e32 v4, v4                                       // 000000006C08: 7E084104
	v_exp_f32_e32 v5, v5                                       // 000000006C0C: 7E0A4105
	v_exp_f32_e32 v6, v6                                       // 000000006C10: 7E0C4106
	v_exp_f32_e32 v7, v7                                       // 000000006C14: 7E0E4107
	v_add_f32_e64 v4, v4, 1.0                                  // 000000006C18: D1010004 0001E504
	v_add_f32_e64 v5, v5, 1.0                                  // 000000006C20: D1010005 0001E505
	v_add_f32_e64 v6, v6, 1.0                                  // 000000006C28: D1010006 0001E506
	v_add_f32_e64 v7, v7, 1.0                                  // 000000006C30: D1010007 0001E507
	v_rcp_f32_e32 v4, v4                                       // 000000006C38: 7E084504
	v_rcp_f32_e32 v5, v5                                       // 000000006C3C: 7E0A4505
	v_rcp_f32_e32 v6, v6                                       // 000000006C40: 7E0C4506
	v_rcp_f32_e32 v7, v7                                       // 000000006C44: 7E0E4507
	v_mul_f32_e32 v68, v68, v4                                 // 000000006C48: 0A880944
	v_mul_f32_e32 v69, v69, v5                                 // 000000006C4C: 0A8A0B45
	v_mul_f32_e32 v70, v70, v6                                 // 000000006C50: 0A8C0D46
	v_mul_f32_e32 v71, v71, v7                                 // 000000006C54: 0A8E0F47
	v_mul_f32_e32 v68, v68, v100                               // 000000006C58: 0A88C944
	v_mul_f32_e32 v69, v69, v101                               // 000000006C5C: 0A8ACB45
	v_mul_f32_e32 v70, v70, v102                               // 000000006C60: 0A8CCD46
	v_mul_f32_e32 v71, v71, v103                               // 000000006C64: 0A8ECF47
	v_pk_mul_f32 v[4:5], v[72:73], v[72:73]                    // 000000006C68: D3B14004 18029148
	v_pk_mul_f32 v[6:7], v[74:75], v[74:75]                    // 000000006C70: D3B14006 1802954A
	v_pk_fma_f32 v[4:5], v[4:5], s[78:79], v[8:9]              // 000000006C78: D3B04004 1C209D04
	v_pk_fma_f32 v[6:7], v[6:7], s[78:79], v[8:9]              // 000000006C80: D3B04006 1C209D06
	v_pk_mul_f32 v[4:5], v[4:5], v[72:73]                      // 000000006C88: D3B14004 18029104
	v_pk_mul_f32 v[6:7], v[6:7], v[74:75]                      // 000000006C90: D3B14006 18029506
	v_pk_mul_f32 v[4:5], v[4:5], s[60:61]                      // 000000006C98: D3B14004 18007904
	v_pk_mul_f32 v[6:7], v[6:7], s[60:61]                      // 000000006CA0: D3B14006 18007906
	v_exp_f32_e32 v4, v4                                       // 000000006CA8: 7E084104
	v_exp_f32_e32 v5, v5                                       // 000000006CAC: 7E0A4105
	v_exp_f32_e32 v6, v6                                       // 000000006CB0: 7E0C4106
	v_exp_f32_e32 v7, v7                                       // 000000006CB4: 7E0E4107
	v_add_f32_e64 v4, v4, 1.0                                  // 000000006CB8: D1010004 0001E504
	v_add_f32_e64 v5, v5, 1.0                                  // 000000006CC0: D1010005 0001E505
	v_add_f32_e64 v6, v6, 1.0                                  // 000000006CC8: D1010006 0001E506
	v_add_f32_e64 v7, v7, 1.0                                  // 000000006CD0: D1010007 0001E507
	v_rcp_f32_e32 v4, v4                                       // 000000006CD8: 7E084504
	v_rcp_f32_e32 v5, v5                                       // 000000006CDC: 7E0A4505
	v_rcp_f32_e32 v6, v6                                       // 000000006CE0: 7E0C4506
	v_rcp_f32_e32 v7, v7                                       // 000000006CE4: 7E0E4507
	v_mul_f32_e32 v72, v72, v4                                 // 000000006CE8: 0A900948
	v_mul_f32_e32 v73, v73, v5                                 // 000000006CEC: 0A920B49
	v_mul_f32_e32 v74, v74, v6                                 // 000000006CF0: 0A940D4A
	v_mul_f32_e32 v75, v75, v7                                 // 000000006CF4: 0A960F4B
	v_mul_f32_e32 v72, v72, v104                               // 000000006CF8: 0A90D148
	v_mul_f32_e32 v73, v73, v105                               // 000000006CFC: 0A92D349
	v_mul_f32_e32 v74, v74, v106                               // 000000006D00: 0A94D54A
	v_mul_f32_e32 v75, v75, v107                               // 000000006D04: 0A96D74B
	s_branch label_11C6                                        // 000000006D08: BF820100

0000000000006d0c <label_10C6>:
	v_mul_f32_e64 v4, -v44, s6                                 // 000000006D0C: D1050004 20000D2C
	v_mul_f32_e64 v5, -v45, s6                                 // 000000006D14: D1050005 20000D2D
	v_mul_f32_e64 v6, -v46, s6                                 // 000000006D1C: D1050006 20000D2E
	v_mul_f32_e64 v7, -v47, s6                                 // 000000006D24: D1050007 20000D2F
	v_exp_f32_e32 v4, v4                                       // 000000006D2C: 7E084104
	v_exp_f32_e32 v5, v5                                       // 000000006D30: 7E0A4105
	v_exp_f32_e32 v6, v6                                       // 000000006D34: 7E0C4106
	v_exp_f32_e32 v7, v7                                       // 000000006D38: 7E0E4107
	v_add_f32_e64 v4, v4, 1.0                                  // 000000006D3C: D1010004 0001E504
	v_add_f32_e64 v5, v5, 1.0                                  // 000000006D44: D1010005 0001E505
	v_add_f32_e64 v6, v6, 1.0                                  // 000000006D4C: D1010006 0001E506
	v_add_f32_e64 v7, v7, 1.0                                  // 000000006D54: D1010007 0001E507
	v_rcp_f32_e32 v4, v4                                       // 000000006D5C: 7E084504
	v_rcp_f32_e32 v5, v5                                       // 000000006D60: 7E0A4505
	v_rcp_f32_e32 v6, v6                                       // 000000006D64: 7E0C4506
	v_rcp_f32_e32 v7, v7                                       // 000000006D68: 7E0E4507
	v_mul_f32_e32 v44, v44, v4                                 // 000000006D6C: 0A58092C
	v_mul_f32_e32 v45, v45, v5                                 // 000000006D70: 0A5A0B2D
	v_mul_f32_e32 v46, v46, v6                                 // 000000006D74: 0A5C0D2E
	v_mul_f32_e32 v47, v47, v7                                 // 000000006D78: 0A5E0F2F
	v_mul_f32_e32 v44, v44, v76                                // 000000006D7C: 0A58992C
	v_mul_f32_e32 v45, v45, v77                                // 000000006D80: 0A5A9B2D
	v_mul_f32_e32 v46, v46, v78                                // 000000006D84: 0A5C9D2E
	v_mul_f32_e32 v47, v47, v79                                // 000000006D88: 0A5E9F2F
	v_mul_f32_e64 v4, -v48, s6                                 // 000000006D8C: D1050004 20000D30
	v_mul_f32_e64 v5, -v49, s6                                 // 000000006D94: D1050005 20000D31
	v_mul_f32_e64 v6, -v50, s6                                 // 000000006D9C: D1050006 20000D32
	v_mul_f32_e64 v7, -v51, s6                                 // 000000006DA4: D1050007 20000D33
	v_exp_f32_e32 v4, v4                                       // 000000006DAC: 7E084104
	v_exp_f32_e32 v5, v5                                       // 000000006DB0: 7E0A4105
	v_exp_f32_e32 v6, v6                                       // 000000006DB4: 7E0C4106
	v_exp_f32_e32 v7, v7                                       // 000000006DB8: 7E0E4107
	v_add_f32_e64 v4, v4, 1.0                                  // 000000006DBC: D1010004 0001E504
	v_add_f32_e64 v5, v5, 1.0                                  // 000000006DC4: D1010005 0001E505
	v_add_f32_e64 v6, v6, 1.0                                  // 000000006DCC: D1010006 0001E506
	v_add_f32_e64 v7, v7, 1.0                                  // 000000006DD4: D1010007 0001E507
	v_rcp_f32_e32 v4, v4                                       // 000000006DDC: 7E084504
	v_rcp_f32_e32 v5, v5                                       // 000000006DE0: 7E0A4505
	v_rcp_f32_e32 v6, v6                                       // 000000006DE4: 7E0C4506
	v_rcp_f32_e32 v7, v7                                       // 000000006DE8: 7E0E4507
	v_mul_f32_e32 v48, v48, v4                                 // 000000006DEC: 0A600930
	v_mul_f32_e32 v49, v49, v5                                 // 000000006DF0: 0A620B31
	v_mul_f32_e32 v50, v50, v6                                 // 000000006DF4: 0A640D32
	v_mul_f32_e32 v51, v51, v7                                 // 000000006DF8: 0A660F33
	v_mul_f32_e32 v48, v48, v80                                // 000000006DFC: 0A60A130
	v_mul_f32_e32 v49, v49, v81                                // 000000006E00: 0A62A331
	v_mul_f32_e32 v50, v50, v82                                // 000000006E04: 0A64A532
	v_mul_f32_e32 v51, v51, v83                                // 000000006E08: 0A66A733
	v_mul_f32_e64 v4, -v52, s6                                 // 000000006E0C: D1050004 20000D34
	v_mul_f32_e64 v5, -v53, s6                                 // 000000006E14: D1050005 20000D35
	v_mul_f32_e64 v6, -v54, s6                                 // 000000006E1C: D1050006 20000D36
	v_mul_f32_e64 v7, -v55, s6                                 // 000000006E24: D1050007 20000D37
	v_exp_f32_e32 v4, v4                                       // 000000006E2C: 7E084104
	v_exp_f32_e32 v5, v5                                       // 000000006E30: 7E0A4105
	v_exp_f32_e32 v6, v6                                       // 000000006E34: 7E0C4106
	v_exp_f32_e32 v7, v7                                       // 000000006E38: 7E0E4107
	v_add_f32_e64 v4, v4, 1.0                                  // 000000006E3C: D1010004 0001E504
	v_add_f32_e64 v5, v5, 1.0                                  // 000000006E44: D1010005 0001E505
	v_add_f32_e64 v6, v6, 1.0                                  // 000000006E4C: D1010006 0001E506
	v_add_f32_e64 v7, v7, 1.0                                  // 000000006E54: D1010007 0001E507
	v_rcp_f32_e32 v4, v4                                       // 000000006E5C: 7E084504
	v_rcp_f32_e32 v5, v5                                       // 000000006E60: 7E0A4505
	v_rcp_f32_e32 v6, v6                                       // 000000006E64: 7E0C4506
	v_rcp_f32_e32 v7, v7                                       // 000000006E68: 7E0E4507
	v_mul_f32_e32 v52, v52, v4                                 // 000000006E6C: 0A680934
	v_mul_f32_e32 v53, v53, v5                                 // 000000006E70: 0A6A0B35
	v_mul_f32_e32 v54, v54, v6                                 // 000000006E74: 0A6C0D36
	v_mul_f32_e32 v55, v55, v7                                 // 000000006E78: 0A6E0F37
	v_mul_f32_e32 v52, v52, v84                                // 000000006E7C: 0A68A934
	v_mul_f32_e32 v53, v53, v85                                // 000000006E80: 0A6AAB35
	v_mul_f32_e32 v54, v54, v86                                // 000000006E84: 0A6CAD36
	v_mul_f32_e32 v55, v55, v87                                // 000000006E88: 0A6EAF37
	v_mul_f32_e64 v4, -v56, s6                                 // 000000006E8C: D1050004 20000D38
	v_mul_f32_e64 v5, -v57, s6                                 // 000000006E94: D1050005 20000D39
	v_mul_f32_e64 v6, -v58, s6                                 // 000000006E9C: D1050006 20000D3A
	v_mul_f32_e64 v7, -v59, s6                                 // 000000006EA4: D1050007 20000D3B
	v_exp_f32_e32 v4, v4                                       // 000000006EAC: 7E084104
	v_exp_f32_e32 v5, v5                                       // 000000006EB0: 7E0A4105
	v_exp_f32_e32 v6, v6                                       // 000000006EB4: 7E0C4106
	v_exp_f32_e32 v7, v7                                       // 000000006EB8: 7E0E4107
	v_add_f32_e64 v4, v4, 1.0                                  // 000000006EBC: D1010004 0001E504
	v_add_f32_e64 v5, v5, 1.0                                  // 000000006EC4: D1010005 0001E505
	v_add_f32_e64 v6, v6, 1.0                                  // 000000006ECC: D1010006 0001E506
	v_add_f32_e64 v7, v7, 1.0                                  // 000000006ED4: D1010007 0001E507
	v_rcp_f32_e32 v4, v4                                       // 000000006EDC: 7E084504
	v_rcp_f32_e32 v5, v5                                       // 000000006EE0: 7E0A4505
	v_rcp_f32_e32 v6, v6                                       // 000000006EE4: 7E0C4506
	v_rcp_f32_e32 v7, v7                                       // 000000006EE8: 7E0E4507
	v_mul_f32_e32 v56, v56, v4                                 // 000000006EEC: 0A700938
	v_mul_f32_e32 v57, v57, v5                                 // 000000006EF0: 0A720B39
	v_mul_f32_e32 v58, v58, v6                                 // 000000006EF4: 0A740D3A
	v_mul_f32_e32 v59, v59, v7                                 // 000000006EF8: 0A760F3B
	v_mul_f32_e32 v56, v56, v88                                // 000000006EFC: 0A70B138
	v_mul_f32_e32 v57, v57, v89                                // 000000006F00: 0A72B339
	v_mul_f32_e32 v58, v58, v90                                // 000000006F04: 0A74B53A
	v_mul_f32_e32 v59, v59, v91                                // 000000006F08: 0A76B73B
	v_mul_f32_e64 v4, -v60, s6                                 // 000000006F0C: D1050004 20000D3C
	v_mul_f32_e64 v5, -v61, s6                                 // 000000006F14: D1050005 20000D3D
	v_mul_f32_e64 v6, -v62, s6                                 // 000000006F1C: D1050006 20000D3E
	v_mul_f32_e64 v7, -v63, s6                                 // 000000006F24: D1050007 20000D3F
	v_exp_f32_e32 v4, v4                                       // 000000006F2C: 7E084104
	v_exp_f32_e32 v5, v5                                       // 000000006F30: 7E0A4105
	v_exp_f32_e32 v6, v6                                       // 000000006F34: 7E0C4106
	v_exp_f32_e32 v7, v7                                       // 000000006F38: 7E0E4107
	v_add_f32_e64 v4, v4, 1.0                                  // 000000006F3C: D1010004 0001E504
	v_add_f32_e64 v5, v5, 1.0                                  // 000000006F44: D1010005 0001E505
	v_add_f32_e64 v6, v6, 1.0                                  // 000000006F4C: D1010006 0001E506
	v_add_f32_e64 v7, v7, 1.0                                  // 000000006F54: D1010007 0001E507
	v_rcp_f32_e32 v4, v4                                       // 000000006F5C: 7E084504
	v_rcp_f32_e32 v5, v5                                       // 000000006F60: 7E0A4505
	v_rcp_f32_e32 v6, v6                                       // 000000006F64: 7E0C4506
	v_rcp_f32_e32 v7, v7                                       // 000000006F68: 7E0E4507
	v_mul_f32_e32 v60, v60, v4                                 // 000000006F6C: 0A78093C
	v_mul_f32_e32 v61, v61, v5                                 // 000000006F70: 0A7A0B3D
	v_mul_f32_e32 v62, v62, v6                                 // 000000006F74: 0A7C0D3E
	v_mul_f32_e32 v63, v63, v7                                 // 000000006F78: 0A7E0F3F
	v_mul_f32_e32 v60, v60, v92                                // 000000006F7C: 0A78B93C
	v_mul_f32_e32 v61, v61, v93                                // 000000006F80: 0A7ABB3D
	v_mul_f32_e32 v62, v62, v94                                // 000000006F84: 0A7CBD3E
	v_mul_f32_e32 v63, v63, v95                                // 000000006F88: 0A7EBF3F
	v_mul_f32_e64 v4, -v64, s6                                 // 000000006F8C: D1050004 20000D40
	v_mul_f32_e64 v5, -v65, s6                                 // 000000006F94: D1050005 20000D41
	v_mul_f32_e64 v6, -v66, s6                                 // 000000006F9C: D1050006 20000D42
	v_mul_f32_e64 v7, -v67, s6                                 // 000000006FA4: D1050007 20000D43
	v_exp_f32_e32 v4, v4                                       // 000000006FAC: 7E084104
	v_exp_f32_e32 v5, v5                                       // 000000006FB0: 7E0A4105
	v_exp_f32_e32 v6, v6                                       // 000000006FB4: 7E0C4106
	v_exp_f32_e32 v7, v7                                       // 000000006FB8: 7E0E4107
	v_add_f32_e64 v4, v4, 1.0                                  // 000000006FBC: D1010004 0001E504
	v_add_f32_e64 v5, v5, 1.0                                  // 000000006FC4: D1010005 0001E505
	v_add_f32_e64 v6, v6, 1.0                                  // 000000006FCC: D1010006 0001E506
	v_add_f32_e64 v7, v7, 1.0                                  // 000000006FD4: D1010007 0001E507
	v_rcp_f32_e32 v4, v4                                       // 000000006FDC: 7E084504
	v_rcp_f32_e32 v5, v5                                       // 000000006FE0: 7E0A4505
	v_rcp_f32_e32 v6, v6                                       // 000000006FE4: 7E0C4506
	v_rcp_f32_e32 v7, v7                                       // 000000006FE8: 7E0E4507
	v_mul_f32_e32 v64, v64, v4                                 // 000000006FEC: 0A800940
	v_mul_f32_e32 v65, v65, v5                                 // 000000006FF0: 0A820B41
	v_mul_f32_e32 v66, v66, v6                                 // 000000006FF4: 0A840D42
	v_mul_f32_e32 v67, v67, v7                                 // 000000006FF8: 0A860F43
	v_mul_f32_e32 v64, v64, v96                                // 000000006FFC: 0A80C140
	v_mul_f32_e32 v65, v65, v97                                // 000000007000: 0A82C341
	v_mul_f32_e32 v66, v66, v98                                // 000000007004: 0A84C542
	v_mul_f32_e32 v67, v67, v99                                // 000000007008: 0A86C743
	v_mul_f32_e64 v4, -v68, s6                                 // 00000000700C: D1050004 20000D44
	v_mul_f32_e64 v5, -v69, s6                                 // 000000007014: D1050005 20000D45
	v_mul_f32_e64 v6, -v70, s6                                 // 00000000701C: D1050006 20000D46
	v_mul_f32_e64 v7, -v71, s6                                 // 000000007024: D1050007 20000D47
	v_exp_f32_e32 v4, v4                                       // 00000000702C: 7E084104
	v_exp_f32_e32 v5, v5                                       // 000000007030: 7E0A4105
	v_exp_f32_e32 v6, v6                                       // 000000007034: 7E0C4106
	v_exp_f32_e32 v7, v7                                       // 000000007038: 7E0E4107
	v_add_f32_e64 v4, v4, 1.0                                  // 00000000703C: D1010004 0001E504
	v_add_f32_e64 v5, v5, 1.0                                  // 000000007044: D1010005 0001E505
	v_add_f32_e64 v6, v6, 1.0                                  // 00000000704C: D1010006 0001E506
	v_add_f32_e64 v7, v7, 1.0                                  // 000000007054: D1010007 0001E507
	v_rcp_f32_e32 v4, v4                                       // 00000000705C: 7E084504
	v_rcp_f32_e32 v5, v5                                       // 000000007060: 7E0A4505
	v_rcp_f32_e32 v6, v6                                       // 000000007064: 7E0C4506
	v_rcp_f32_e32 v7, v7                                       // 000000007068: 7E0E4507
	v_mul_f32_e32 v68, v68, v4                                 // 00000000706C: 0A880944
	v_mul_f32_e32 v69, v69, v5                                 // 000000007070: 0A8A0B45
	v_mul_f32_e32 v70, v70, v6                                 // 000000007074: 0A8C0D46
	v_mul_f32_e32 v71, v71, v7                                 // 000000007078: 0A8E0F47
	v_mul_f32_e32 v68, v68, v100                               // 00000000707C: 0A88C944
	v_mul_f32_e32 v69, v69, v101                               // 000000007080: 0A8ACB45
	v_mul_f32_e32 v70, v70, v102                               // 000000007084: 0A8CCD46
	v_mul_f32_e32 v71, v71, v103                               // 000000007088: 0A8ECF47
	v_mul_f32_e64 v4, -v72, s6                                 // 00000000708C: D1050004 20000D48
	v_mul_f32_e64 v5, -v73, s6                                 // 000000007094: D1050005 20000D49
	v_mul_f32_e64 v6, -v74, s6                                 // 00000000709C: D1050006 20000D4A
	v_mul_f32_e64 v7, -v75, s6                                 // 0000000070A4: D1050007 20000D4B
	v_exp_f32_e32 v4, v4                                       // 0000000070AC: 7E084104
	v_exp_f32_e32 v5, v5                                       // 0000000070B0: 7E0A4105
	v_exp_f32_e32 v6, v6                                       // 0000000070B4: 7E0C4106
	v_exp_f32_e32 v7, v7                                       // 0000000070B8: 7E0E4107
	v_add_f32_e64 v4, v4, 1.0                                  // 0000000070BC: D1010004 0001E504
	v_add_f32_e64 v5, v5, 1.0                                  // 0000000070C4: D1010005 0001E505
	v_add_f32_e64 v6, v6, 1.0                                  // 0000000070CC: D1010006 0001E506
	v_add_f32_e64 v7, v7, 1.0                                  // 0000000070D4: D1010007 0001E507
	v_rcp_f32_e32 v4, v4                                       // 0000000070DC: 7E084504
	v_rcp_f32_e32 v5, v5                                       // 0000000070E0: 7E0A4505
	v_rcp_f32_e32 v6, v6                                       // 0000000070E4: 7E0C4506
	v_rcp_f32_e32 v7, v7                                       // 0000000070E8: 7E0E4507
	v_mul_f32_e32 v72, v72, v4                                 // 0000000070EC: 0A900948
	v_mul_f32_e32 v73, v73, v5                                 // 0000000070F0: 0A920B49
	v_mul_f32_e32 v74, v74, v6                                 // 0000000070F4: 0A940D4A
	v_mul_f32_e32 v75, v75, v7                                 // 0000000070F8: 0A960F4B
	v_mul_f32_e32 v72, v72, v104                               // 0000000070FC: 0A90D148
	v_mul_f32_e32 v73, v73, v105                               // 000000007100: 0A92D349
	v_mul_f32_e32 v74, v74, v106                               // 000000007104: 0A94D54A
	v_mul_f32_e32 v75, v75, v107                               // 000000007108: 0A96D74B

000000000000710c <label_11C6>:
	s_cmp_eq_u32 s7, 0                                         // 00000000710C: BF068007
	s_cbranch_scc0 label_11D0                                  // 000000007110: BF840008
	v_and_b32_e32 v4, 15, v0                                   // 000000007114: 2608008F
	v_lshlrev_b32_e32 v4, 2, v4                                // 000000007118: 24080882
	buffer_load_dword v28, v4, s[12:15], 0 offen               // 00000000711C: E0501000 80031C04
	v_add_u32_e32 v4, 64, v4                                   // 000000007124: 680808C0
	buffer_load_dword v29, v4, s[12:15], 0 offen               // 000000007128: E0501000 80031D04
	v_add_u32_e32 v4, 64, v4                                   // 000000007130: 680808C0

0000000000007134 <label_11D0>:
	v_lshlrev_b32_e32 v4, 2, v0                                // 000000007134: 24080082
	s_mul_i32 s60, 0x100, s7                                   // 000000007138: 923C07FF 00000100
	v_add_u32_e32 v80, s60, v4                                 // 000000007140: 68A0083C
	v_and_b32_e32 v4, 15, v0                                   // 000000007144: 2608008F
	v_lshlrev_b32_e32 v81, 2, v4                               // 000000007148: 24A20882
	s_waitcnt lgkmcnt(0)                                       // 00000000714C: BF8CC07F
	s_barrier                                                  // 000000007150: BF8A0000
	v_mov_b32_e32 v76, 0x358637bd                              // 000000007154: 7E9802FF 358637BD
	v_max3_f32 v76, |v44|, |v45|, v76                          // 00000000715C: D1D3034C 05325B2C
	v_max3_f32 v76, |v46|, |v47|, v76                          // 000000007164: D1D3034C 05325F2E
	v_max3_f32 v76, |v52|, |v53|, v76                          // 00000000716C: D1D3034C 05326B34
	v_max3_f32 v76, |v54|, |v55|, v76                          // 000000007174: D1D3034C 05326F36
	ds_write_b32 v80, v76                                      // 00000000717C: D81A0000 00004C50
	s_waitcnt lgkmcnt(0)                                       // 000000007184: BF8CC07F
	s_barrier                                                  // 000000007188: BF8A0000
	ds_read_b32 v4, v81                                        // 00000000718C: D86C0000 04000051
	ds_read_b32 v5, v81 offset:64                              // 000000007194: D86C0040 05000051
	ds_read_b32 v6, v81 offset:128                             // 00000000719C: D86C0080 06000051
	ds_read_b32 v7, v81 offset:192                             // 0000000071A4: D86C00C0 07000051
	ds_read_b32 v8, v81 offset:256                             // 0000000071AC: D86C0100 08000051
	ds_read_b32 v9, v81 offset:320                             // 0000000071B4: D86C0140 09000051
	ds_read_b32 v10, v81 offset:384                            // 0000000071BC: D86C0180 0A000051
	ds_read_b32 v11, v81 offset:448                            // 0000000071C4: D86C01C0 0B000051
	ds_read_b32 v12, v81 offset:512                            // 0000000071CC: D86C0200 0C000051
	ds_read_b32 v13, v81 offset:576                            // 0000000071D4: D86C0240 0D000051
	ds_read_b32 v14, v81 offset:640                            // 0000000071DC: D86C0280 0E000051
	ds_read_b32 v15, v81 offset:704                            // 0000000071E4: D86C02C0 0F000051
	ds_read_b32 v16, v81 offset:768                            // 0000000071EC: D86C0300 10000051
	ds_read_b32 v17, v81 offset:832                            // 0000000071F4: D86C0340 11000051
	ds_read_b32 v18, v81 offset:896                            // 0000000071FC: D86C0380 12000051
	ds_read_b32 v19, v81 offset:960                            // 000000007204: D86C03C0 13000051
	s_waitcnt lgkmcnt(0)                                       // 00000000720C: BF8CC07F
	s_barrier                                                  // 000000007210: BF8A0000
	v_max3_f32 v76, |v4|, |v5|, v76                            // 000000007214: D1D3034C 05320B04
	v_max3_f32 v76, |v6|, |v7|, v76                            // 00000000721C: D1D3034C 05320F06
	v_max3_f32 v76, |v8|, |v9|, v76                            // 000000007224: D1D3034C 05321308
	v_max3_f32 v76, |v10|, |v11|, v76                          // 00000000722C: D1D3034C 0532170A
	v_max3_f32 v76, |v12|, |v13|, v76                          // 000000007234: D1D3034C 05321B0C
	v_max3_f32 v76, |v14|, |v15|, v76                          // 00000000723C: D1D3034C 05321F0E
	v_max3_f32 v76, |v16|, |v17|, v76                          // 000000007244: D1D3034C 05322310
	v_max3_f32 v76, |v18|, |v19|, v76                          // 00000000724C: D1D3034C 05322712
	v_rcp_f32_e32 v76, v76                                     // 000000007254: 7E98454C
	v_mov_b32_e32 v4, 0x43700000                               // 000000007258: 7E0802FF 43700000
	v_mul_f32_e32 v76, v4, v76                                 // 000000007260: 0A989904
	v_mov_b32_e32 v4, v76                                      // 000000007264: 7E08034C
	v_mov_b32_e32 v5, v4                                       // 000000007268: 7E0A0304
	v_pk_mul_f32 v[44:45], v[4:5], v[44:45]                    // 00000000726C: D3B1402C 18025904
	v_pk_mul_f32 v[46:47], v[4:5], v[46:47]                    // 000000007274: D3B1402E 18025D04
	v_cvt_pk_fp8_f32 v44, v44, v45                             // 00000000727C: D2A2002C 00025B2C
	v_cvt_pk_fp8_f32 v44, v46, v47 op_sel:[0,0,1]              // 000000007284: D2A2402C 00025F2E
	v_pk_mul_f32 v[52:53], v[4:5], v[52:53]                    // 00000000728C: D3B14034 18026904
	v_pk_mul_f32 v[54:55], v[4:5], v[54:55]                    // 000000007294: D3B14036 18026D04
	v_cvt_pk_fp8_f32 v52, v52, v53                             // 00000000729C: D2A20034 00026B34
	v_cvt_pk_fp8_f32 v52, v54, v55 op_sel:[0,0,1]              // 0000000072A4: D2A24034 00026F36
	v_rcp_f32_e32 v76, v76                                     // 0000000072AC: 7E98454C
	v_mov_b32_e32 v78, 0x358637bd                              // 0000000072B0: 7E9C02FF 358637BD
	v_max3_f32 v78, |v60|, |v61|, v78                          // 0000000072B8: D1D3034E 053A7B3C
	v_max3_f32 v78, |v62|, |v63|, v78                          // 0000000072C0: D1D3034E 053A7F3E
	v_max3_f32 v78, |v68|, |v69|, v78                          // 0000000072C8: D1D3034E 053A8B44
	v_max3_f32 v78, |v70|, |v71|, v78                          // 0000000072D0: D1D3034E 053A8F46
	ds_write_b32 v80, v78                                      // 0000000072D8: D81A0000 00004E50
	s_waitcnt lgkmcnt(0)                                       // 0000000072E0: BF8CC07F
	s_barrier                                                  // 0000000072E4: BF8A0000
	ds_read_b32 v4, v81                                        // 0000000072E8: D86C0000 04000051
	ds_read_b32 v5, v81 offset:64                              // 0000000072F0: D86C0040 05000051
	ds_read_b32 v6, v81 offset:128                             // 0000000072F8: D86C0080 06000051
	ds_read_b32 v7, v81 offset:192                             // 000000007300: D86C00C0 07000051
	ds_read_b32 v8, v81 offset:256                             // 000000007308: D86C0100 08000051
	ds_read_b32 v9, v81 offset:320                             // 000000007310: D86C0140 09000051
	ds_read_b32 v10, v81 offset:384                            // 000000007318: D86C0180 0A000051
	ds_read_b32 v11, v81 offset:448                            // 000000007320: D86C01C0 0B000051
	ds_read_b32 v12, v81 offset:512                            // 000000007328: D86C0200 0C000051
	ds_read_b32 v13, v81 offset:576                            // 000000007330: D86C0240 0D000051
	ds_read_b32 v14, v81 offset:640                            // 000000007338: D86C0280 0E000051
	ds_read_b32 v15, v81 offset:704                            // 000000007340: D86C02C0 0F000051
	ds_read_b32 v16, v81 offset:768                            // 000000007348: D86C0300 10000051
	ds_read_b32 v17, v81 offset:832                            // 000000007350: D86C0340 11000051
	ds_read_b32 v18, v81 offset:896                            // 000000007358: D86C0380 12000051
	ds_read_b32 v19, v81 offset:960                            // 000000007360: D86C03C0 13000051
	s_waitcnt lgkmcnt(0)                                       // 000000007368: BF8CC07F
	s_barrier                                                  // 00000000736C: BF8A0000
	v_max3_f32 v78, |v4|, |v5|, v78                            // 000000007370: D1D3034E 053A0B04
	v_max3_f32 v78, |v6|, |v7|, v78                            // 000000007378: D1D3034E 053A0F06
	v_max3_f32 v78, |v8|, |v9|, v78                            // 000000007380: D1D3034E 053A1308
	v_max3_f32 v78, |v10|, |v11|, v78                          // 000000007388: D1D3034E 053A170A
	v_max3_f32 v78, |v12|, |v13|, v78                          // 000000007390: D1D3034E 053A1B0C
	v_max3_f32 v78, |v14|, |v15|, v78                          // 000000007398: D1D3034E 053A1F0E
	v_max3_f32 v78, |v16|, |v17|, v78                          // 0000000073A0: D1D3034E 053A2310
	v_max3_f32 v78, |v18|, |v19|, v78                          // 0000000073A8: D1D3034E 053A2712
	v_rcp_f32_e32 v78, v78                                     // 0000000073B0: 7E9C454E
	v_mov_b32_e32 v4, 0x43700000                               // 0000000073B4: 7E0802FF 43700000
	v_mul_f32_e32 v78, v4, v78                                 // 0000000073BC: 0A9C9D04
	v_mov_b32_e32 v4, v78                                      // 0000000073C0: 7E08034E
	v_mov_b32_e32 v5, v4                                       // 0000000073C4: 7E0A0304
	v_pk_mul_f32 v[60:61], v[4:5], v[60:61]                    // 0000000073C8: D3B1403C 18027904
	v_pk_mul_f32 v[62:63], v[4:5], v[62:63]                    // 0000000073D0: D3B1403E 18027D04
	v_cvt_pk_fp8_f32 v60, v60, v61                             // 0000000073D8: D2A2003C 00027B3C
	v_cvt_pk_fp8_f32 v60, v62, v63 op_sel:[0,0,1]              // 0000000073E0: D2A2403C 00027F3E
	v_pk_mul_f32 v[68:69], v[4:5], v[68:69]                    // 0000000073E8: D3B14044 18028904
	v_pk_mul_f32 v[70:71], v[4:5], v[70:71]                    // 0000000073F0: D3B14046 18028D04
	v_cvt_pk_fp8_f32 v68, v68, v69                             // 0000000073F8: D2A20044 00028B44
	v_cvt_pk_fp8_f32 v68, v70, v71 op_sel:[0,0,1]              // 000000007400: D2A24044 00028F46
	v_rcp_f32_e32 v78, v78                                     // 000000007408: 7E9C454E
	v_mov_b32_e32 v77, 0x358637bd                              // 00000000740C: 7E9A02FF 358637BD
	v_max3_f32 v77, |v48|, |v49|, v77                          // 000000007414: D1D3034D 05366330
	v_max3_f32 v77, |v50|, |v51|, v77                          // 00000000741C: D1D3034D 05366732
	v_max3_f32 v77, |v56|, |v57|, v77                          // 000000007424: D1D3034D 05367338
	v_max3_f32 v77, |v58|, |v59|, v77                          // 00000000742C: D1D3034D 0536773A
	ds_write_b32 v80, v77                                      // 000000007434: D81A0000 00004D50
	s_waitcnt lgkmcnt(0)                                       // 00000000743C: BF8CC07F
	s_barrier                                                  // 000000007440: BF8A0000
	ds_read_b32 v4, v81                                        // 000000007444: D86C0000 04000051
	ds_read_b32 v5, v81 offset:64                              // 00000000744C: D86C0040 05000051
	ds_read_b32 v6, v81 offset:128                             // 000000007454: D86C0080 06000051
	ds_read_b32 v7, v81 offset:192                             // 00000000745C: D86C00C0 07000051
	ds_read_b32 v8, v81 offset:256                             // 000000007464: D86C0100 08000051
	ds_read_b32 v9, v81 offset:320                             // 00000000746C: D86C0140 09000051
	ds_read_b32 v10, v81 offset:384                            // 000000007474: D86C0180 0A000051
	ds_read_b32 v11, v81 offset:448                            // 00000000747C: D86C01C0 0B000051
	ds_read_b32 v12, v81 offset:512                            // 000000007484: D86C0200 0C000051
	ds_read_b32 v13, v81 offset:576                            // 00000000748C: D86C0240 0D000051
	ds_read_b32 v14, v81 offset:640                            // 000000007494: D86C0280 0E000051
	ds_read_b32 v15, v81 offset:704                            // 00000000749C: D86C02C0 0F000051
	ds_read_b32 v16, v81 offset:768                            // 0000000074A4: D86C0300 10000051
	ds_read_b32 v17, v81 offset:832                            // 0000000074AC: D86C0340 11000051
	ds_read_b32 v18, v81 offset:896                            // 0000000074B4: D86C0380 12000051
	ds_read_b32 v19, v81 offset:960                            // 0000000074BC: D86C03C0 13000051
	s_waitcnt lgkmcnt(0)                                       // 0000000074C4: BF8CC07F
	s_barrier                                                  // 0000000074C8: BF8A0000
	v_max3_f32 v77, |v4|, |v5|, v77                            // 0000000074CC: D1D3034D 05360B04
	v_max3_f32 v77, |v6|, |v7|, v77                            // 0000000074D4: D1D3034D 05360F06
	v_max3_f32 v77, |v8|, |v9|, v77                            // 0000000074DC: D1D3034D 05361308
	v_max3_f32 v77, |v10|, |v11|, v77                          // 0000000074E4: D1D3034D 0536170A
	v_max3_f32 v77, |v12|, |v13|, v77                          // 0000000074EC: D1D3034D 05361B0C
	v_max3_f32 v77, |v14|, |v15|, v77                          // 0000000074F4: D1D3034D 05361F0E
	v_max3_f32 v77, |v16|, |v17|, v77                          // 0000000074FC: D1D3034D 05362310
	v_max3_f32 v77, |v18|, |v19|, v77                          // 000000007504: D1D3034D 05362712
	v_rcp_f32_e32 v77, v77                                     // 00000000750C: 7E9A454D
	v_mov_b32_e32 v4, 0x43700000                               // 000000007510: 7E0802FF 43700000
	v_mul_f32_e32 v77, v4, v77                                 // 000000007518: 0A9A9B04
	v_mov_b32_e32 v4, v77                                      // 00000000751C: 7E08034D
	v_mov_b32_e32 v5, v4                                       // 000000007520: 7E0A0304
	v_pk_mul_f32 v[48:49], v[4:5], v[48:49]                    // 000000007524: D3B14030 18026104
	v_pk_mul_f32 v[50:51], v[4:5], v[50:51]                    // 00000000752C: D3B14032 18026504
	v_cvt_pk_fp8_f32 v48, v48, v49                             // 000000007534: D2A20030 00026330
	v_cvt_pk_fp8_f32 v48, v50, v51 op_sel:[0,0,1]              // 00000000753C: D2A24030 00026732
	v_pk_mul_f32 v[56:57], v[4:5], v[56:57]                    // 000000007544: D3B14038 18027104
	v_pk_mul_f32 v[58:59], v[4:5], v[58:59]                    // 00000000754C: D3B1403A 18027504
	v_cvt_pk_fp8_f32 v56, v56, v57                             // 000000007554: D2A20038 00027338
	v_cvt_pk_fp8_f32 v56, v58, v59 op_sel:[0,0,1]              // 00000000755C: D2A24038 0002773A
	v_rcp_f32_e32 v77, v77                                     // 000000007564: 7E9A454D
	v_mov_b32_e32 v79, 0x358637bd                              // 000000007568: 7E9E02FF 358637BD
	v_max3_f32 v79, |v64|, |v65|, v79                          // 000000007570: D1D3034F 053E8340
	v_max3_f32 v79, |v66|, |v67|, v79                          // 000000007578: D1D3034F 053E8742
	v_max3_f32 v79, |v72|, |v73|, v79                          // 000000007580: D1D3034F 053E9348
	v_max3_f32 v79, |v74|, |v75|, v79                          // 000000007588: D1D3034F 053E974A
	ds_write_b32 v80, v79                                      // 000000007590: D81A0000 00004F50
	s_waitcnt lgkmcnt(0)                                       // 000000007598: BF8CC07F
	s_barrier                                                  // 00000000759C: BF8A0000
	ds_read_b32 v4, v81                                        // 0000000075A0: D86C0000 04000051
	ds_read_b32 v5, v81 offset:64                              // 0000000075A8: D86C0040 05000051
	ds_read_b32 v6, v81 offset:128                             // 0000000075B0: D86C0080 06000051
	ds_read_b32 v7, v81 offset:192                             // 0000000075B8: D86C00C0 07000051
	ds_read_b32 v8, v81 offset:256                             // 0000000075C0: D86C0100 08000051
	ds_read_b32 v9, v81 offset:320                             // 0000000075C8: D86C0140 09000051
	ds_read_b32 v10, v81 offset:384                            // 0000000075D0: D86C0180 0A000051
	ds_read_b32 v11, v81 offset:448                            // 0000000075D8: D86C01C0 0B000051
	ds_read_b32 v12, v81 offset:512                            // 0000000075E0: D86C0200 0C000051
	ds_read_b32 v13, v81 offset:576                            // 0000000075E8: D86C0240 0D000051
	ds_read_b32 v14, v81 offset:640                            // 0000000075F0: D86C0280 0E000051
	ds_read_b32 v15, v81 offset:704                            // 0000000075F8: D86C02C0 0F000051
	ds_read_b32 v16, v81 offset:768                            // 000000007600: D86C0300 10000051
	ds_read_b32 v17, v81 offset:832                            // 000000007608: D86C0340 11000051
	ds_read_b32 v18, v81 offset:896                            // 000000007610: D86C0380 12000051
	ds_read_b32 v19, v81 offset:960                            // 000000007618: D86C03C0 13000051
	s_waitcnt lgkmcnt(0)                                       // 000000007620: BF8CC07F
	s_barrier                                                  // 000000007624: BF8A0000
	v_max3_f32 v79, |v4|, |v5|, v79                            // 000000007628: D1D3034F 053E0B04
	v_max3_f32 v79, |v6|, |v7|, v79                            // 000000007630: D1D3034F 053E0F06
	v_max3_f32 v79, |v8|, |v9|, v79                            // 000000007638: D1D3034F 053E1308
	v_max3_f32 v79, |v10|, |v11|, v79                          // 000000007640: D1D3034F 053E170A
	v_max3_f32 v79, |v12|, |v13|, v79                          // 000000007648: D1D3034F 053E1B0C
	v_max3_f32 v79, |v14|, |v15|, v79                          // 000000007650: D1D3034F 053E1F0E
	v_max3_f32 v79, |v16|, |v17|, v79                          // 000000007658: D1D3034F 053E2310
	v_max3_f32 v79, |v18|, |v19|, v79                          // 000000007660: D1D3034F 053E2712
	v_rcp_f32_e32 v79, v79                                     // 000000007668: 7E9E454F
	v_mov_b32_e32 v4, 0x43700000                               // 00000000766C: 7E0802FF 43700000
	v_mul_f32_e32 v79, v4, v79                                 // 000000007674: 0A9E9F04
	v_mov_b32_e32 v4, v79                                      // 000000007678: 7E08034F
	v_mov_b32_e32 v5, v4                                       // 00000000767C: 7E0A0304
	v_pk_mul_f32 v[64:65], v[4:5], v[64:65]                    // 000000007680: D3B14040 18028104
	v_pk_mul_f32 v[66:67], v[4:5], v[66:67]                    // 000000007688: D3B14042 18028504
	v_cvt_pk_fp8_f32 v64, v64, v65                             // 000000007690: D2A20040 00028340
	v_cvt_pk_fp8_f32 v64, v66, v67 op_sel:[0,0,1]              // 000000007698: D2A24040 00028742
	v_pk_mul_f32 v[72:73], v[4:5], v[72:73]                    // 0000000076A0: D3B14048 18029104
	v_pk_mul_f32 v[74:75], v[4:5], v[74:75]                    // 0000000076A8: D3B1404A 18029504
	v_cvt_pk_fp8_f32 v72, v72, v73                             // 0000000076B0: D2A20048 00029348
	v_cvt_pk_fp8_f32 v72, v74, v75 op_sel:[0,0,1]              // 0000000076B8: D2A24048 0002974A
	v_rcp_f32_e32 v79, v79                                     // 0000000076C0: 7E9E454F
	v_lshrrev_b32_e32 v4, 5, v0                                // 0000000076C4: 20080085
	v_mul_lo_u32 v20, 34, v4                                   // 0000000076C8: D2850014 000208A2
	v_and_b32_e32 v4, 31, v0                                   // 0000000076D0: 2608009F
	v_lshrrev_b32_e32 v5, 4, v4                                // 0000000076D4: 200A0884
	v_add_u32_e32 v20, v5, v20                                 // 0000000076D8: 68282905
	v_and_b32_e32 v4, 15, v0                                   // 0000000076DC: 2608008F
	v_mul_lo_u32 v5, 2, v4                                     // 0000000076E0: D2850005 00020882
	v_add_u32_e32 v20, v5, v20                                 // 0000000076E8: 68282905
	s_mul_i32 s60, s7, 0x44                                    // 0000000076EC: 923CFF07 00000044
	v_add_u32_e32 v20, s60, v20                                // 0000000076F4: 6828283C
	v_lshlrev_b32_e32 v20, 2, v20                              // 0000000076F8: 24282882
	ds_write_b32 v20, v44                                      // 0000000076FC: D81A0000 00002C14
	ds_write_b32 v20, v48 offset:4352                          // 000000007704: D81A1100 00003014
	ds_write_b32 v20, v52 offset:1088                          // 00000000770C: D81A0440 00003414
	ds_write_b32 v20, v56 offset:5440                          // 000000007714: D81A1540 00003814
	ds_write_b32 v20, v60 offset:2176                          // 00000000771C: D81A0880 00003C14
	ds_write_b32 v20, v64 offset:6528                          // 000000007724: D81A1980 00004014
	ds_write_b32 v20, v68 offset:3264                          // 00000000772C: D81A0CC0 00004414
	ds_write_b32 v20, v72 offset:7616                          // 000000007734: D81A1DC0 00004814
	v_lshrrev_b32_e32 v4, 5, v0                                // 00000000773C: 20080085
	v_xor_b32_e32 v5, 1, v4                                    // 000000007740: 2A0A0881
	s_mul_i32 s60, s65, 1                                      // 000000007744: 923C8141
	s_cmp_eq_u32 s88, 0                                        // 000000007748: BF068058
	s_cselect_b32 s61, 1, 8                                    // 00000000774C: 853D8881
	s_mul_i32 s60, s61, s60                                    // 000000007750: 923C3C3D
	v_readlane_b32 s82, v3, 0                                  // 000000007754: D2890052 00010103
	s_lshr_b32 s61, s82, 24                                    // 00000000775C: 8F3D9852
	s_and_b32 s82, s82, 0xffffff                               // 000000007760: 8652FF52 00FFFFFF
	s_mul_i32 s82, s82, s71                                    // 000000007768: 92524752
	s_mul_i32 s61, s60, s61                                    // 00000000776C: 923D3D3C
	s_add_u32 s82, s82, s61                                    // 000000007770: 80523D52
	v_mul_lo_u32 v6, v5, s82                                   // 000000007774: D2850006 0000A505
	v_readlane_b32 s82, v3, 1                                  // 00000000777C: D2890052 00010303
	s_lshr_b32 s61, s82, 24                                    // 000000007784: 8F3D9852
	s_and_b32 s82, s82, 0xffffff                               // 000000007788: 8652FF52 00FFFFFF
	s_mul_i32 s82, s82, s71                                    // 000000007790: 92524752
	s_mul_i32 s61, s60, s61                                    // 000000007794: 923D3D3C
	s_add_u32 s82, s82, s61                                    // 000000007798: 80523D52
	v_mul_lo_u32 v7, v4, s82                                   // 00000000779C: D2850007 0000A504
	v_add_u32_e32 v36, v6, v7                                  // 0000000077A4: 68480F06
	v_readlane_b32 s82, v3, 2                                  // 0000000077A8: D2890052 00010503
	s_lshr_b32 s61, s82, 24                                    // 0000000077B0: 8F3D9852
	s_and_b32 s82, s82, 0xffffff                               // 0000000077B4: 8652FF52 00FFFFFF
	s_mul_i32 s82, s82, s71                                    // 0000000077BC: 92524752
	s_mul_i32 s61, s60, s61                                    // 0000000077C0: 923D3D3C
	s_add_u32 s82, s82, s61                                    // 0000000077C4: 80523D52
	v_mul_lo_u32 v6, v5, s82                                   // 0000000077C8: D2850006 0000A505
	v_readlane_b32 s82, v3, 3                                  // 0000000077D0: D2890052 00010703
	s_lshr_b32 s61, s82, 24                                    // 0000000077D8: 8F3D9852
	s_and_b32 s82, s82, 0xffffff                               // 0000000077DC: 8652FF52 00FFFFFF
	s_mul_i32 s82, s82, s71                                    // 0000000077E4: 92524752
	s_mul_i32 s61, s60, s61                                    // 0000000077E8: 923D3D3C
	s_add_u32 s82, s82, s61                                    // 0000000077EC: 80523D52
	v_mul_lo_u32 v7, v4, s82                                   // 0000000077F0: D2850007 0000A504
	v_add_u32_e32 v37, v6, v7                                  // 0000000077F8: 684A0F06
	v_readlane_b32 s82, v3, 4                                  // 0000000077FC: D2890052 00010903
	s_lshr_b32 s61, s82, 24                                    // 000000007804: 8F3D9852
	s_and_b32 s82, s82, 0xffffff                               // 000000007808: 8652FF52 00FFFFFF
	s_mul_i32 s82, s82, s71                                    // 000000007810: 92524752
	s_mul_i32 s61, s60, s61                                    // 000000007814: 923D3D3C
	s_add_u32 s82, s82, s61                                    // 000000007818: 80523D52
	v_mul_lo_u32 v6, v5, s82                                   // 00000000781C: D2850006 0000A505
	v_readlane_b32 s82, v3, 5                                  // 000000007824: D2890052 00010B03
	s_lshr_b32 s61, s82, 24                                    // 00000000782C: 8F3D9852
	s_and_b32 s82, s82, 0xffffff                               // 000000007830: 8652FF52 00FFFFFF
	s_mul_i32 s82, s82, s71                                    // 000000007838: 92524752
	s_mul_i32 s61, s60, s61                                    // 00000000783C: 923D3D3C
	s_add_u32 s82, s82, s61                                    // 000000007840: 80523D52
	v_mul_lo_u32 v7, v4, s82                                   // 000000007844: D2850007 0000A504
	v_add_u32_e32 v38, v6, v7                                  // 00000000784C: 684C0F06
	v_readlane_b32 s82, v3, 6                                  // 000000007850: D2890052 00010D03
	s_lshr_b32 s61, s82, 24                                    // 000000007858: 8F3D9852
	s_and_b32 s82, s82, 0xffffff                               // 00000000785C: 8652FF52 00FFFFFF
	s_mul_i32 s82, s82, s71                                    // 000000007864: 92524752
	s_mul_i32 s61, s60, s61                                    // 000000007868: 923D3D3C
	s_add_u32 s82, s82, s61                                    // 00000000786C: 80523D52
	v_mul_lo_u32 v6, v5, s82                                   // 000000007870: D2850006 0000A505
	v_readlane_b32 s82, v3, 7                                  // 000000007878: D2890052 00010F03
	s_lshr_b32 s61, s82, 24                                    // 000000007880: 8F3D9852
	s_and_b32 s82, s82, 0xffffff                               // 000000007884: 8652FF52 00FFFFFF
	s_mul_i32 s82, s82, s71                                    // 00000000788C: 92524752
	s_mul_i32 s61, s60, s61                                    // 000000007890: 923D3D3C
	s_add_u32 s82, s82, s61                                    // 000000007894: 80523D52
	v_mul_lo_u32 v7, v4, s82                                   // 000000007898: D2850007 0000A504
	v_add_u32_e32 v39, v6, v7                                  // 0000000078A0: 684E0F06
	v_and_b32_e32 v4, 31, v0                                   // 0000000078A4: 2608009F
	v_lshrrev_b32_e32 v4, 1, v4                                // 0000000078A8: 20080881
	s_cmp_eq_u32 s88, 0                                        // 0000000078AC: BF068058
	s_cselect_b32 s61, 2, 4                                    // 0000000078B0: 853D8482
	v_mul_lo_u32 v4, v4, s61                                   // 0000000078B4: D2850004 00007B04
	v_and_b32_e64 v5, v0, 1                                    // 0000000078BC: D1130005 00010300
	v_add_u32_e32 v4, v4, v5                                   // 0000000078C4: 68080B04
	v_lshlrev_b32_e32 v4, 2, v4                                // 0000000078C8: 24080882
	v_add_u32_e32 v36, v36, v4                                 // 0000000078CC: 68480924
	v_add_u32_e32 v37, v37, v4                                 // 0000000078D0: 684A0925
	v_add_u32_e32 v38, v38, v4                                 // 0000000078D4: 684C0926
	v_add_u32_e32 v39, v39, v4                                 // 0000000078D8: 684E0927
	s_waitcnt lgkmcnt(0)                                       // 0000000078DC: BF8CC07F
	s_barrier                                                  // 0000000078E0: BF8A0000
	ds_read_b32 v44, v21                                       // 0000000078E4: D86C0000 2C000015
	ds_read_b32 v45, v21 offset:64                             // 0000000078EC: D86C0040 2D000015
	ds_read_b32 v46, v21 offset:2176                           // 0000000078F4: D86C0880 2E000015
	ds_read_b32 v47, v21 offset:2240                           // 0000000078FC: D86C08C0 2F000015
	ds_read_b32 v48, v21 offset:4352                           // 000000007904: D86C1100 30000015
	ds_read_b32 v49, v21 offset:4416                           // 00000000790C: D86C1140 31000015
	ds_read_b32 v50, v21 offset:6528                           // 000000007914: D86C1980 32000015
	ds_read_b32 v51, v21 offset:6592                           // 00000000791C: D86C19C0 33000015
	s_waitcnt lgkmcnt(0)                                       // 000000007924: BF8CC07F
	s_mov_b32 s36, -1                                          // 000000007928: BEA400C1
	s_mov_b32 s37, -1                                          // 00000000792C: BEA500C1
	v_mov_b32_e32 v7, 0                                        // 000000007930: 7E0E0280
	s_or_b32 s9, s9, 0x40000                                   // 000000007934: 8709FF09 00040000
	s_mov_b64 exec, s[36:37]                                   // 00000000793C: BEFE0124
	v_mov_b32_e32 v6, v36                                      // 000000007940: 7E0C0324
	s_mov_b64 s[60:61], 0                                      // 000000007944: BEBC0180
	v_readlane_b32 s82, v3, 0                                  // 000000007948: D2890052 00010103
	s_and_b32 s82, s82, 0xffffff                               // 000000007950: 8652FF52 00FFFFFF
	s_cmp_lt_u32 s82, s66                                      // 000000007958: BF0A4252
	s_cselect_b32 s20, s36, s60                                // 00000000795C: 85143C24
	v_readlane_b32 s82, v3, 1                                  // 000000007960: D2890052 00010303
	s_and_b32 s82, s82, 0xffffff                               // 000000007968: 8652FF52 00FFFFFF
	s_cmp_lt_u32 s82, s66                                      // 000000007970: BF0A4252
	s_cselect_b32 s21, s36, s60                                // 000000007974: 85153C24
	s_mov_b64 exec, s[20:21]                                   // 000000007978: BEFE0114
	buffer_store_dword v44, v6, s[8:11], 0 offen               // 00000000797C: E0701000 80022C06
	buffer_store_dword v46, v6, s[8:11], 0 offen offset:128    // 000000007984: E0701080 80022E06
	s_mov_b64 exec, s[36:37]                                   // 00000000798C: BEFE0124
	v_mov_b32_e32 v6, v37                                      // 000000007990: 7E0C0325
	s_mov_b64 s[60:61], 0                                      // 000000007994: BEBC0180
	v_readlane_b32 s82, v3, 2                                  // 000000007998: D2890052 00010503
	s_and_b32 s82, s82, 0xffffff                               // 0000000079A0: 8652FF52 00FFFFFF
	s_cmp_lt_u32 s82, s66                                      // 0000000079A8: BF0A4252
	s_cselect_b32 s20, s36, s60                                // 0000000079AC: 85143C24
	v_readlane_b32 s82, v3, 3                                  // 0000000079B0: D2890052 00010703
	s_and_b32 s82, s82, 0xffffff                               // 0000000079B8: 8652FF52 00FFFFFF
	s_cmp_lt_u32 s82, s66                                      // 0000000079C0: BF0A4252
	s_cselect_b32 s21, s36, s60                                // 0000000079C4: 85153C24
	s_mov_b64 exec, s[20:21]                                   // 0000000079C8: BEFE0114
	buffer_store_dword v45, v6, s[8:11], 0 offen               // 0000000079CC: E0701000 80022D06
	buffer_store_dword v47, v6, s[8:11], 0 offen offset:128    // 0000000079D4: E0701080 80022F06
	s_mov_b64 exec, s[36:37]                                   // 0000000079DC: BEFE0124
	v_mov_b32_e32 v6, v38                                      // 0000000079E0: 7E0C0326
	s_mov_b64 s[60:61], 0                                      // 0000000079E4: BEBC0180
	v_readlane_b32 s82, v3, 4                                  // 0000000079E8: D2890052 00010903
	s_and_b32 s82, s82, 0xffffff                               // 0000000079F0: 8652FF52 00FFFFFF
	s_cmp_lt_u32 s82, s66                                      // 0000000079F8: BF0A4252
	s_cselect_b32 s20, s36, s60                                // 0000000079FC: 85143C24
	v_readlane_b32 s82, v3, 5                                  // 000000007A00: D2890052 00010B03
	s_and_b32 s82, s82, 0xffffff                               // 000000007A08: 8652FF52 00FFFFFF
	s_cmp_lt_u32 s82, s66                                      // 000000007A10: BF0A4252
	s_cselect_b32 s21, s36, s60                                // 000000007A14: 85153C24
	s_mov_b64 exec, s[20:21]                                   // 000000007A18: BEFE0114
	buffer_store_dword v48, v6, s[8:11], 0 offen               // 000000007A1C: E0701000 80023006
	buffer_store_dword v50, v6, s[8:11], 0 offen offset:128    // 000000007A24: E0701080 80023206
	s_mov_b64 exec, s[36:37]                                   // 000000007A2C: BEFE0124
	v_mov_b32_e32 v6, v39                                      // 000000007A30: 7E0C0327
	s_mov_b64 s[60:61], 0                                      // 000000007A34: BEBC0180
	v_readlane_b32 s82, v3, 6                                  // 000000007A38: D2890052 00010D03
	s_and_b32 s82, s82, 0xffffff                               // 000000007A40: 8652FF52 00FFFFFF
	s_cmp_lt_u32 s82, s66                                      // 000000007A48: BF0A4252
	s_cselect_b32 s20, s36, s60                                // 000000007A4C: 85143C24
	v_readlane_b32 s82, v3, 7                                  // 000000007A50: D2890052 00010F03
	s_and_b32 s82, s82, 0xffffff                               // 000000007A58: 8652FF52 00FFFFFF
	s_cmp_lt_u32 s82, s66                                      // 000000007A60: BF0A4252
	s_cselect_b32 s21, s36, s60                                // 000000007A64: 85153C24
	s_mov_b64 exec, s[20:21]                                   // 000000007A68: BEFE0114
	buffer_store_dword v49, v6, s[8:11], 0 offen               // 000000007A6C: E0701000 80023106
	buffer_store_dword v51, v6, s[8:11], 0 offen offset:128    // 000000007A74: E0701080 80023306
	s_mov_b64 exec, s[36:37]                                   // 000000007A7C: BEFE0124
	s_cmp_eq_u32 s7, 0                                         // 000000007A80: BF068007
	s_cbranch_scc0 label_1710                                  // 000000007A84: BF8402EB
	s_waitcnt vmcnt(8)                                         // 000000007A88: BF8C0F78
	s_mov_b32 s8, s90                                          // 000000007A8C: BE88005A
	s_mov_b32 s9, s91                                          // 000000007A90: BE89005B
	s_mul_i32 s60, s66, s71                                    // 000000007A94: 923C4742
	s_add_u32 s8, s60, s8                                      // 000000007A98: 8008083C
	s_addc_u32 s9, 0, s9                                       // 000000007A9C: 82090980
	s_lshr_b32 s71, s71, 5                                     // 000000007AA0: 8F478547
	s_mul_i32 s60, s66, s71                                    // 000000007AA4: 923C4742
	s_mov_b32 s10, s60                                         // 000000007AA8: BE8A003C
	s_lshr_b32 s61, s65, 5                                     // 000000007AAC: 8F3D8541
	s_mul_i32 s60, s2, 8                                       // 000000007AB0: 923C8802
	v_lshrrev_b32_e32 v4, 24, v28                              // 000000007AB4: 20083898
	v_mul_lo_u32 v4, s61, v4                                   // 000000007AB8: D2850004 0002083D
	v_and_b32_e32 v28, 0xffffff, v28                           // 000000007AC0: 263838FF 00FFFFFF
	v_mul_lo_u32 v28, s71, v28                                 // 000000007AC8: D285001C 00023847
	v_add_u32_e32 v28, v4, v28                                 // 000000007AD0: 68383904
	v_add_u32_e32 v28, s60, v28                                // 000000007AD4: 6838383C
	v_lshrrev_b32_e32 v4, 24, v29                              // 000000007AD8: 20083A98
	v_mul_lo_u32 v4, s61, v4                                   // 000000007ADC: D2850004 0002083D
	v_and_b32_e32 v29, 0xffffff, v29                           // 000000007AE4: 263A3AFF 00FFFFFF
	v_mul_lo_u32 v29, s71, v29                                 // 000000007AEC: D285001D 00023A47
	v_add_u32_e32 v29, v4, v29                                 // 000000007AF4: 683A3B04
	v_add_u32_e32 v29, s60, v29                                // 000000007AF8: 683A3A3C
	s_mov_b64 exec, 0xffff                                     // 000000007AFC: BEFE01FF 0000FFFF
	buffer_store_dword v76, v28, s[8:11], 0 offen              // 000000007B04: E0701000 80024C1C
	buffer_store_dword v78, v28, s[8:11], 0 offen offset:4     // 000000007B0C: E0701004 80024E1C
	buffer_store_dword v77, v29, s[8:11], 0 offen              // 000000007B14: E0701000 80024D1D
	buffer_store_dword v79, v29, s[8:11], 0 offen offset:4     // 000000007B1C: E0701004 80024F1D
	s_mov_b64 exec, s[36:37]                                   // 000000007B24: BEFE0124
	s_branch label_1710                                        // 000000007B28: BF8202C2

0000000000007b2c <label_144E>:
	ds_write_b64 v20, v[44:45]                                 // 000000007B2C: D89A0000 00002C14
	ds_write_b64 v20, v[48:49] offset:8704                     // 000000007B34: D89A2200 00003014
	ds_write_b64 v20, v[52:53] offset:2176                     // 000000007B3C: D89A0880 00003414
	ds_write_b64 v20, v[56:57] offset:10880                    // 000000007B44: D89A2A80 00003814
	ds_write_b64 v20, v[60:61] offset:4352                     // 000000007B4C: D89A1100 00003C14
	ds_write_b64 v20, v[64:65] offset:13056                    // 000000007B54: D89A3300 00004014
	ds_write_b64 v20, v[68:69] offset:6528                     // 000000007B5C: D89A1980 00004414
	ds_write_b64 v20, v[72:73] offset:15232                    // 000000007B64: D89A3B80 00004814
	v_lshrrev_b32_e32 v4, 5, v0                                // 000000007B6C: 20080085
	v_xor_b32_e32 v5, 1, v4                                    // 000000007B70: 2A0A0881
	s_mul_i32 s60, s65, 1                                      // 000000007B74: 923C8141
	s_cmp_eq_u32 s88, 0                                        // 000000007B78: BF068058
	s_cselect_b32 s61, 1, 8                                    // 000000007B7C: 853D8881
	s_mul_i32 s60, s61, s60                                    // 000000007B80: 923C3C3D
	v_readlane_b32 s82, v3, 0                                  // 000000007B84: D2890052 00010103
	s_lshr_b32 s61, s82, 24                                    // 000000007B8C: 8F3D9852
	s_and_b32 s82, s82, 0xffffff                               // 000000007B90: 8652FF52 00FFFFFF
	s_mul_i32 s82, s82, s71                                    // 000000007B98: 92524752
	s_mul_i32 s61, s60, s61                                    // 000000007B9C: 923D3D3C
	s_add_u32 s82, s82, s61                                    // 000000007BA0: 80523D52
	v_mul_lo_u32 v6, v5, s82                                   // 000000007BA4: D2850006 0000A505
	v_readlane_b32 s82, v3, 1                                  // 000000007BAC: D2890052 00010303
	s_lshr_b32 s61, s82, 24                                    // 000000007BB4: 8F3D9852
	s_and_b32 s82, s82, 0xffffff                               // 000000007BB8: 8652FF52 00FFFFFF
	s_mul_i32 s82, s82, s71                                    // 000000007BC0: 92524752
	s_mul_i32 s61, s60, s61                                    // 000000007BC4: 923D3D3C
	s_add_u32 s82, s82, s61                                    // 000000007BC8: 80523D52
	v_mul_lo_u32 v7, v4, s82                                   // 000000007BCC: D2850007 0000A504
	v_add_u32_e32 v36, v6, v7                                  // 000000007BD4: 68480F06
	v_readlane_b32 s82, v3, 2                                  // 000000007BD8: D2890052 00010503
	s_lshr_b32 s61, s82, 24                                    // 000000007BE0: 8F3D9852
	s_and_b32 s82, s82, 0xffffff                               // 000000007BE4: 8652FF52 00FFFFFF
	s_mul_i32 s82, s82, s71                                    // 000000007BEC: 92524752
	s_mul_i32 s61, s60, s61                                    // 000000007BF0: 923D3D3C
	s_add_u32 s82, s82, s61                                    // 000000007BF4: 80523D52
	v_mul_lo_u32 v6, v5, s82                                   // 000000007BF8: D2850006 0000A505
	v_readlane_b32 s82, v3, 3                                  // 000000007C00: D2890052 00010703
	s_lshr_b32 s61, s82, 24                                    // 000000007C08: 8F3D9852
	s_and_b32 s82, s82, 0xffffff                               // 000000007C0C: 8652FF52 00FFFFFF
	s_mul_i32 s82, s82, s71                                    // 000000007C14: 92524752
	s_mul_i32 s61, s60, s61                                    // 000000007C18: 923D3D3C
	s_add_u32 s82, s82, s61                                    // 000000007C1C: 80523D52
	v_mul_lo_u32 v7, v4, s82                                   // 000000007C20: D2850007 0000A504
	v_add_u32_e32 v37, v6, v7                                  // 000000007C28: 684A0F06
	v_readlane_b32 s82, v3, 4                                  // 000000007C2C: D2890052 00010903
	s_lshr_b32 s61, s82, 24                                    // 000000007C34: 8F3D9852
	s_and_b32 s82, s82, 0xffffff                               // 000000007C38: 8652FF52 00FFFFFF
	s_mul_i32 s82, s82, s71                                    // 000000007C40: 92524752
	s_mul_i32 s61, s60, s61                                    // 000000007C44: 923D3D3C
	s_add_u32 s82, s82, s61                                    // 000000007C48: 80523D52
	v_mul_lo_u32 v6, v5, s82                                   // 000000007C4C: D2850006 0000A505
	v_readlane_b32 s82, v3, 5                                  // 000000007C54: D2890052 00010B03
	s_lshr_b32 s61, s82, 24                                    // 000000007C5C: 8F3D9852
	s_and_b32 s82, s82, 0xffffff                               // 000000007C60: 8652FF52 00FFFFFF
	s_mul_i32 s82, s82, s71                                    // 000000007C68: 92524752
	s_mul_i32 s61, s60, s61                                    // 000000007C6C: 923D3D3C
	s_add_u32 s82, s82, s61                                    // 000000007C70: 80523D52
	v_mul_lo_u32 v7, v4, s82                                   // 000000007C74: D2850007 0000A504
	v_add_u32_e32 v38, v6, v7                                  // 000000007C7C: 684C0F06
	v_readlane_b32 s82, v3, 6                                  // 000000007C80: D2890052 00010D03
	s_lshr_b32 s61, s82, 24                                    // 000000007C88: 8F3D9852
	s_and_b32 s82, s82, 0xffffff                               // 000000007C8C: 8652FF52 00FFFFFF
	s_mul_i32 s82, s82, s71                                    // 000000007C94: 92524752
	s_mul_i32 s61, s60, s61                                    // 000000007C98: 923D3D3C
	s_add_u32 s82, s82, s61                                    // 000000007C9C: 80523D52
	v_mul_lo_u32 v6, v5, s82                                   // 000000007CA0: D2850006 0000A505
	v_readlane_b32 s82, v3, 7                                  // 000000007CA8: D2890052 00010F03
	s_lshr_b32 s61, s82, 24                                    // 000000007CB0: 8F3D9852
	s_and_b32 s82, s82, 0xffffff                               // 000000007CB4: 8652FF52 00FFFFFF
	s_mul_i32 s82, s82, s71                                    // 000000007CBC: 92524752
	s_mul_i32 s61, s60, s61                                    // 000000007CC0: 923D3D3C
	s_add_u32 s82, s82, s61                                    // 000000007CC4: 80523D52
	v_mul_lo_u32 v7, v4, s82                                   // 000000007CC8: D2850007 0000A504
	v_add_u32_e32 v39, v6, v7                                  // 000000007CD0: 684E0F06
	v_and_b32_e32 v4, 31, v0                                   // 000000007CD4: 2608009F
	v_lshrrev_b32_e32 v4, 1, v4                                // 000000007CD8: 20080881
	s_cmp_eq_u32 s88, 0                                        // 000000007CDC: BF068058
	s_cselect_b32 s61, 2, 4                                    // 000000007CE0: 853D8482
	v_mul_lo_u32 v4, v4, s61                                   // 000000007CE4: D2850004 00007B04
	v_and_b32_e64 v5, v0, 1                                    // 000000007CEC: D1130005 00010300
	v_add_u32_e32 v4, v4, v5                                   // 000000007CF4: 68080B04
	v_lshlrev_b32_e32 v4, 2, v4                                // 000000007CF8: 24080882
	v_add_u32_e32 v36, v36, v4                                 // 000000007CFC: 68480924
	v_add_u32_e32 v37, v37, v4                                 // 000000007D00: 684A0925
	v_add_u32_e32 v38, v38, v4                                 // 000000007D04: 684C0926
	v_add_u32_e32 v39, v39, v4                                 // 000000007D08: 684E0927
	s_waitcnt lgkmcnt(0)                                       // 000000007D0C: BF8CC07F
	s_barrier                                                  // 000000007D10: BF8A0000
	ds_read_b32 v44, v21                                       // 000000007D14: D86C0000 2C000015
	ds_read_b32 v45, v21 offset:64                             // 000000007D1C: D86C0040 2D000015
	ds_read_b32 v48, v21 offset:2176                           // 000000007D24: D86C0880 30000015
	ds_read_b32 v49, v21 offset:2240                           // 000000007D2C: D86C08C0 31000015
	ds_read_b32 v52, v21 offset:4352                           // 000000007D34: D86C1100 34000015
	ds_read_b32 v53, v21 offset:4416                           // 000000007D3C: D86C1140 35000015
	ds_read_b32 v56, v21 offset:6528                           // 000000007D44: D86C1980 38000015
	ds_read_b32 v57, v21 offset:6592                           // 000000007D4C: D86C19C0 39000015
	ds_read_b32 v60, v21 offset:8704                           // 000000007D54: D86C2200 3C000015
	ds_read_b32 v61, v21 offset:8768                           // 000000007D5C: D86C2240 3D000015
	ds_read_b32 v64, v21 offset:10880                          // 000000007D64: D86C2A80 40000015
	ds_read_b32 v65, v21 offset:10944                          // 000000007D6C: D86C2AC0 41000015
	ds_read_b32 v68, v21 offset:13056                          // 000000007D74: D86C3300 44000015
	ds_read_b32 v69, v21 offset:13120                          // 000000007D7C: D86C3340 45000015
	ds_read_b32 v72, v21 offset:15232                          // 000000007D84: D86C3B80 48000015
	ds_read_b32 v73, v21 offset:15296                          // 000000007D8C: D86C3BC0 49000015
	s_waitcnt lgkmcnt(0)                                       // 000000007D94: BF8CC07F
	s_mov_b32 s36, -1                                          // 000000007D98: BEA400C1
	s_mov_b32 s37, -1                                          // 000000007D9C: BEA500C1
	v_mov_b32_e32 v7, 0                                        // 000000007DA0: 7E0E0280
	s_mov_b64 exec, s[36:37]                                   // 000000007DA4: BEFE0124
	v_mov_b32_e32 v6, v36                                      // 000000007DA8: 7E0C0324
	s_mov_b64 s[60:61], 0                                      // 000000007DAC: BEBC0180
	v_readlane_b32 s82, v3, 0                                  // 000000007DB0: D2890052 00010103
	s_and_b32 s82, s82, 0xffffff                               // 000000007DB8: 8652FF52 00FFFFFF
	s_cmp_lt_u32 s82, s66                                      // 000000007DC0: BF0A4252
	s_cselect_b32 s20, s36, s60                                // 000000007DC4: 85143C24
	v_readlane_b32 s82, v3, 1                                  // 000000007DC8: D2890052 00010303
	s_and_b32 s82, s82, 0xffffff                               // 000000007DD0: 8652FF52 00FFFFFF
	s_cmp_lt_u32 s82, s66                                      // 000000007DD8: BF0A4252
	s_cselect_b32 s21, s36, s60                                // 000000007DDC: 85153C24
	s_mov_b64 exec, s[20:21]                                   // 000000007DE0: BEFE0114
	global_atomic_add_f32 v6, v44, s[8:9]                      // 000000007DE4: DD348000 00082C06
	global_atomic_add_f32 v6, v48, s[8:9] offset:256           // 000000007DEC: DD348100 00083006
	global_atomic_add_f32 v6, v52, s[8:9] offset:512           // 000000007DF4: DD348200 00083406
	global_atomic_add_f32 v6, v56, s[8:9] offset:768           // 000000007DFC: DD348300 00083806
	s_mov_b64 exec, s[36:37]                                   // 000000007E04: BEFE0124
	v_mov_b32_e32 v6, v37                                      // 000000007E08: 7E0C0325
	s_mov_b64 s[60:61], 0                                      // 000000007E0C: BEBC0180
	v_readlane_b32 s82, v3, 2                                  // 000000007E10: D2890052 00010503
	s_and_b32 s82, s82, 0xffffff                               // 000000007E18: 8652FF52 00FFFFFF
	s_cmp_lt_u32 s82, s66                                      // 000000007E20: BF0A4252
	s_cselect_b32 s20, s36, s60                                // 000000007E24: 85143C24
	v_readlane_b32 s82, v3, 3                                  // 000000007E28: D2890052 00010703
	s_and_b32 s82, s82, 0xffffff                               // 000000007E30: 8652FF52 00FFFFFF
	s_cmp_lt_u32 s82, s66                                      // 000000007E38: BF0A4252
	s_cselect_b32 s21, s36, s60                                // 000000007E3C: 85153C24
	s_mov_b64 exec, s[20:21]                                   // 000000007E40: BEFE0114
	global_atomic_add_f32 v6, v45, s[8:9]                      // 000000007E44: DD348000 00082D06
	global_atomic_add_f32 v6, v49, s[8:9] offset:256           // 000000007E4C: DD348100 00083106
	global_atomic_add_f32 v6, v53, s[8:9] offset:512           // 000000007E54: DD348200 00083506
	global_atomic_add_f32 v6, v57, s[8:9] offset:768           // 000000007E5C: DD348300 00083906
	s_mov_b64 exec, s[36:37]                                   // 000000007E64: BEFE0124
	v_mov_b32_e32 v6, v38                                      // 000000007E68: 7E0C0326
	s_mov_b64 s[60:61], 0                                      // 000000007E6C: BEBC0180
	v_readlane_b32 s82, v3, 4                                  // 000000007E70: D2890052 00010903
	s_and_b32 s82, s82, 0xffffff                               // 000000007E78: 8652FF52 00FFFFFF
	s_cmp_lt_u32 s82, s66                                      // 000000007E80: BF0A4252
	s_cselect_b32 s20, s36, s60                                // 000000007E84: 85143C24
	v_readlane_b32 s82, v3, 5                                  // 000000007E88: D2890052 00010B03
	s_and_b32 s82, s82, 0xffffff                               // 000000007E90: 8652FF52 00FFFFFF
	s_cmp_lt_u32 s82, s66                                      // 000000007E98: BF0A4252
	s_cselect_b32 s21, s36, s60                                // 000000007E9C: 85153C24
	s_mov_b64 exec, s[20:21]                                   // 000000007EA0: BEFE0114
	global_atomic_add_f32 v6, v60, s[8:9]                      // 000000007EA4: DD348000 00083C06
	global_atomic_add_f32 v6, v64, s[8:9] offset:256           // 000000007EAC: DD348100 00084006
	global_atomic_add_f32 v6, v68, s[8:9] offset:512           // 000000007EB4: DD348200 00084406
	global_atomic_add_f32 v6, v72, s[8:9] offset:768           // 000000007EBC: DD348300 00084806
	s_mov_b64 exec, s[36:37]                                   // 000000007EC4: BEFE0124
	v_mov_b32_e32 v6, v39                                      // 000000007EC8: 7E0C0327
	s_mov_b64 s[60:61], 0                                      // 000000007ECC: BEBC0180
	v_readlane_b32 s82, v3, 6                                  // 000000007ED0: D2890052 00010D03
	s_and_b32 s82, s82, 0xffffff                               // 000000007ED8: 8652FF52 00FFFFFF
	s_cmp_lt_u32 s82, s66                                      // 000000007EE0: BF0A4252
	s_cselect_b32 s20, s36, s60                                // 000000007EE4: 85143C24
	v_readlane_b32 s82, v3, 7                                  // 000000007EE8: D2890052 00010F03
	s_and_b32 s82, s82, 0xffffff                               // 000000007EF0: 8652FF52 00FFFFFF
	s_cmp_lt_u32 s82, s66                                      // 000000007EF8: BF0A4252
	s_cselect_b32 s21, s36, s60                                // 000000007EFC: 85153C24
	s_mov_b64 exec, s[20:21]                                   // 000000007F00: BEFE0114
	global_atomic_add_f32 v6, v61, s[8:9]                      // 000000007F04: DD348000 00083D06
	global_atomic_add_f32 v6, v65, s[8:9] offset:256           // 000000007F0C: DD348100 00084106
	global_atomic_add_f32 v6, v69, s[8:9] offset:512           // 000000007F14: DD348200 00084506
	global_atomic_add_f32 v6, v73, s[8:9] offset:768           // 000000007F1C: DD348300 00084906
	s_mov_b64 exec, s[36:37]                                   // 000000007F24: BEFE0124
	ds_write_b64 v20, v[46:47]                                 // 000000007F28: D89A0000 00002E14
	ds_write_b64 v20, v[50:51] offset:8704                     // 000000007F30: D89A2200 00003214
	ds_write_b64 v20, v[54:55] offset:2176                     // 000000007F38: D89A0880 00003614
	ds_write_b64 v20, v[58:59] offset:10880                    // 000000007F40: D89A2A80 00003A14
	ds_write_b64 v20, v[62:63] offset:4352                     // 000000007F48: D89A1100 00003E14
	ds_write_b64 v20, v[66:67] offset:13056                    // 000000007F50: D89A3300 00004214
	ds_write_b64 v20, v[70:71] offset:6528                     // 000000007F58: D89A1980 00004614
	ds_write_b64 v20, v[74:75] offset:15232                    // 000000007F60: D89A3B80 00004A14
	s_waitcnt lgkmcnt(0)                                       // 000000007F68: BF8CC07F
	s_barrier                                                  // 000000007F6C: BF8A0000
	ds_read_b32 v46, v21                                       // 000000007F70: D86C0000 2E000015
	ds_read_b32 v47, v21 offset:64                             // 000000007F78: D86C0040 2F000015
	ds_read_b32 v50, v21 offset:2176                           // 000000007F80: D86C0880 32000015
	ds_read_b32 v51, v21 offset:2240                           // 000000007F88: D86C08C0 33000015
	ds_read_b32 v54, v21 offset:4352                           // 000000007F90: D86C1100 36000015
	ds_read_b32 v55, v21 offset:4416                           // 000000007F98: D86C1140 37000015
	ds_read_b32 v58, v21 offset:6528                           // 000000007FA0: D86C1980 3A000015
	ds_read_b32 v59, v21 offset:6592                           // 000000007FA8: D86C19C0 3B000015
	ds_read_b32 v62, v21 offset:8704                           // 000000007FB0: D86C2200 3E000015
	ds_read_b32 v63, v21 offset:8768                           // 000000007FB8: D86C2240 3F000015
	ds_read_b32 v66, v21 offset:10880                          // 000000007FC0: D86C2A80 42000015
	ds_read_b32 v67, v21 offset:10944                          // 000000007FC8: D86C2AC0 43000015
	ds_read_b32 v70, v21 offset:13056                          // 000000007FD0: D86C3300 46000015
	ds_read_b32 v71, v21 offset:13120                          // 000000007FD8: D86C3340 47000015
	ds_read_b32 v74, v21 offset:15232                          // 000000007FE0: D86C3B80 4A000015
	ds_read_b32 v75, v21 offset:15296                          // 000000007FE8: D86C3BC0 4B000015
	s_waitcnt lgkmcnt(0)                                       // 000000007FF0: BF8CC07F
	v_mov_b32_e32 v7, 0                                        // 000000007FF4: 7E0E0280
	s_mov_b64 exec, s[36:37]                                   // 000000007FF8: BEFE0124
	v_mov_b32_e32 v6, v36                                      // 000000007FFC: 7E0C0324
	s_mov_b64 s[60:61], 0                                      // 000000008000: BEBC0180
	v_readlane_b32 s82, v3, 0                                  // 000000008004: D2890052 00010103
	s_and_b32 s82, s82, 0xffffff                               // 00000000800C: 8652FF52 00FFFFFF
	s_cmp_lt_u32 s82, s66                                      // 000000008014: BF0A4252
	s_cselect_b32 s20, s36, s60                                // 000000008018: 85143C24
	v_readlane_b32 s82, v3, 1                                  // 00000000801C: D2890052 00010303
	s_and_b32 s82, s82, 0xffffff                               // 000000008024: 8652FF52 00FFFFFF
	s_cmp_lt_u32 s82, s66                                      // 00000000802C: BF0A4252
	s_cselect_b32 s21, s36, s60                                // 000000008030: 85153C24
	s_mov_b64 exec, s[20:21]                                   // 000000008034: BEFE0114
	global_atomic_add_f32 v6, v46, s[8:9] offset:8             // 000000008038: DD348008 00082E06
	global_atomic_add_f32 v6, v50, s[8:9] offset:264           // 000000008040: DD348108 00083206
	global_atomic_add_f32 v6, v54, s[8:9] offset:520           // 000000008048: DD348208 00083606
	global_atomic_add_f32 v6, v58, s[8:9] offset:776           // 000000008050: DD348308 00083A06
	s_mov_b64 exec, s[36:37]                                   // 000000008058: BEFE0124
	v_mov_b32_e32 v6, v37                                      // 00000000805C: 7E0C0325
	s_mov_b64 s[60:61], 0                                      // 000000008060: BEBC0180
	v_readlane_b32 s82, v3, 2                                  // 000000008064: D2890052 00010503
	s_and_b32 s82, s82, 0xffffff                               // 00000000806C: 8652FF52 00FFFFFF
	s_cmp_lt_u32 s82, s66                                      // 000000008074: BF0A4252
	s_cselect_b32 s20, s36, s60                                // 000000008078: 85143C24
	v_readlane_b32 s82, v3, 3                                  // 00000000807C: D2890052 00010703
	s_and_b32 s82, s82, 0xffffff                               // 000000008084: 8652FF52 00FFFFFF
	s_cmp_lt_u32 s82, s66                                      // 00000000808C: BF0A4252
	s_cselect_b32 s21, s36, s60                                // 000000008090: 85153C24
	s_mov_b64 exec, s[20:21]                                   // 000000008094: BEFE0114
	global_atomic_add_f32 v6, v47, s[8:9] offset:8             // 000000008098: DD348008 00082F06
	global_atomic_add_f32 v6, v51, s[8:9] offset:264           // 0000000080A0: DD348108 00083306
	global_atomic_add_f32 v6, v55, s[8:9] offset:520           // 0000000080A8: DD348208 00083706
	global_atomic_add_f32 v6, v59, s[8:9] offset:776           // 0000000080B0: DD348308 00083B06
	s_mov_b64 exec, s[36:37]                                   // 0000000080B8: BEFE0124
	v_mov_b32_e32 v6, v38                                      // 0000000080BC: 7E0C0326
	s_mov_b64 s[60:61], 0                                      // 0000000080C0: BEBC0180
	v_readlane_b32 s82, v3, 4                                  // 0000000080C4: D2890052 00010903
	s_and_b32 s82, s82, 0xffffff                               // 0000000080CC: 8652FF52 00FFFFFF
	s_cmp_lt_u32 s82, s66                                      // 0000000080D4: BF0A4252
	s_cselect_b32 s20, s36, s60                                // 0000000080D8: 85143C24
	v_readlane_b32 s82, v3, 5                                  // 0000000080DC: D2890052 00010B03
	s_and_b32 s82, s82, 0xffffff                               // 0000000080E4: 8652FF52 00FFFFFF
	s_cmp_lt_u32 s82, s66                                      // 0000000080EC: BF0A4252
	s_cselect_b32 s21, s36, s60                                // 0000000080F0: 85153C24
	s_mov_b64 exec, s[20:21]                                   // 0000000080F4: BEFE0114
	global_atomic_add_f32 v6, v62, s[8:9] offset:8             // 0000000080F8: DD348008 00083E06
	global_atomic_add_f32 v6, v66, s[8:9] offset:264           // 000000008100: DD348108 00084206
	global_atomic_add_f32 v6, v70, s[8:9] offset:520           // 000000008108: DD348208 00084606
	global_atomic_add_f32 v6, v74, s[8:9] offset:776           // 000000008110: DD348308 00084A06
	s_mov_b64 exec, s[36:37]                                   // 000000008118: BEFE0124
	v_mov_b32_e32 v6, v39                                      // 00000000811C: 7E0C0327
	s_mov_b64 s[60:61], 0                                      // 000000008120: BEBC0180
	v_readlane_b32 s82, v3, 6                                  // 000000008124: D2890052 00010D03
	s_and_b32 s82, s82, 0xffffff                               // 00000000812C: 8652FF52 00FFFFFF
	s_cmp_lt_u32 s82, s66                                      // 000000008134: BF0A4252
	s_cselect_b32 s20, s36, s60                                // 000000008138: 85143C24
	v_readlane_b32 s82, v3, 7                                  // 00000000813C: D2890052 00010F03
	s_and_b32 s82, s82, 0xffffff                               // 000000008144: 8652FF52 00FFFFFF
	s_cmp_lt_u32 s82, s66                                      // 00000000814C: BF0A4252
	s_cselect_b32 s21, s36, s60                                // 000000008150: 85153C24
	s_mov_b64 exec, s[20:21]                                   // 000000008154: BEFE0114
	global_atomic_add_f32 v6, v63, s[8:9] offset:8             // 000000008158: DD348008 00083F06
	global_atomic_add_f32 v6, v67, s[8:9] offset:264           // 000000008160: DD348108 00084306
	global_atomic_add_f32 v6, v71, s[8:9] offset:520           // 000000008168: DD348208 00084706
	global_atomic_add_f32 v6, v75, s[8:9] offset:776           // 000000008170: DD348308 00084B06
	s_mov_b64 exec, s[36:37]                                   // 000000008178: BEFE0124
	ds_write_b64 v20, v[76:77]                                 // 00000000817C: D89A0000 00004C14
	ds_write_b64 v20, v[80:81] offset:8704                     // 000000008184: D89A2200 00005014
	ds_write_b64 v20, v[84:85] offset:2176                     // 00000000818C: D89A0880 00005414
	ds_write_b64 v20, v[88:89] offset:10880                    // 000000008194: D89A2A80 00005814
	ds_write_b64 v20, v[92:93] offset:4352                     // 00000000819C: D89A1100 00005C14
	ds_write_b64 v20, v[96:97] offset:13056                    // 0000000081A4: D89A3300 00006014
	ds_write_b64 v20, v[100:101] offset:6528                   // 0000000081AC: D89A1980 00006414
	ds_write_b64 v20, v[104:105] offset:15232                  // 0000000081B4: D89A3B80 00006814
	s_waitcnt lgkmcnt(0)                                       // 0000000081BC: BF8CC07F
	s_barrier                                                  // 0000000081C0: BF8A0000
	ds_read_b32 v76, v21                                       // 0000000081C4: D86C0000 4C000015
	ds_read_b32 v77, v21 offset:64                             // 0000000081CC: D86C0040 4D000015
	ds_read_b32 v80, v21 offset:2176                           // 0000000081D4: D86C0880 50000015
	ds_read_b32 v81, v21 offset:2240                           // 0000000081DC: D86C08C0 51000015
	ds_read_b32 v84, v21 offset:4352                           // 0000000081E4: D86C1100 54000015
	ds_read_b32 v85, v21 offset:4416                           // 0000000081EC: D86C1140 55000015
	ds_read_b32 v88, v21 offset:6528                           // 0000000081F4: D86C1980 58000015
	ds_read_b32 v89, v21 offset:6592                           // 0000000081FC: D86C19C0 59000015
	ds_read_b32 v92, v21 offset:8704                           // 000000008204: D86C2200 5C000015
	ds_read_b32 v93, v21 offset:8768                           // 00000000820C: D86C2240 5D000015
	ds_read_b32 v96, v21 offset:10880                          // 000000008214: D86C2A80 60000015
	ds_read_b32 v97, v21 offset:10944                          // 00000000821C: D86C2AC0 61000015
	ds_read_b32 v100, v21 offset:13056                         // 000000008224: D86C3300 64000015
	ds_read_b32 v101, v21 offset:13120                         // 00000000822C: D86C3340 65000015
	ds_read_b32 v104, v21 offset:15232                         // 000000008234: D86C3B80 68000015
	ds_read_b32 v105, v21 offset:15296                         // 00000000823C: D86C3BC0 69000015
	s_mul_i32 s60, s65, 4                                      // 000000008244: 923C8441
	s_add_u32 s8, s60, s8                                      // 000000008248: 8008083C
	s_addc_u32 s9, 0, s9                                       // 00000000824C: 82090980
	s_waitcnt lgkmcnt(0)                                       // 000000008250: BF8CC07F
	v_mov_b32_e32 v7, 0                                        // 000000008254: 7E0E0280
	s_mov_b64 exec, s[36:37]                                   // 000000008258: BEFE0124
	v_mov_b32_e32 v6, v36                                      // 00000000825C: 7E0C0324
	s_mov_b64 s[60:61], 0                                      // 000000008260: BEBC0180
	v_readlane_b32 s82, v3, 0                                  // 000000008264: D2890052 00010103
	s_and_b32 s82, s82, 0xffffff                               // 00000000826C: 8652FF52 00FFFFFF
	s_cmp_lt_u32 s82, s66                                      // 000000008274: BF0A4252
	s_cselect_b32 s20, s36, s60                                // 000000008278: 85143C24
	v_readlane_b32 s82, v3, 1                                  // 00000000827C: D2890052 00010303
	s_and_b32 s82, s82, 0xffffff                               // 000000008284: 8652FF52 00FFFFFF
	s_cmp_lt_u32 s82, s66                                      // 00000000828C: BF0A4252
	s_cselect_b32 s21, s36, s60                                // 000000008290: 85153C24
	s_mov_b64 exec, s[20:21]                                   // 000000008294: BEFE0114
	global_atomic_add_f32 v6, v76, s[8:9]                      // 000000008298: DD348000 00084C06
	global_atomic_add_f32 v6, v80, s[8:9] offset:256           // 0000000082A0: DD348100 00085006
	global_atomic_add_f32 v6, v84, s[8:9] offset:512           // 0000000082A8: DD348200 00085406
	global_atomic_add_f32 v6, v88, s[8:9] offset:768           // 0000000082B0: DD348300 00085806
	s_mov_b64 exec, s[36:37]                                   // 0000000082B8: BEFE0124
	v_mov_b32_e32 v6, v37                                      // 0000000082BC: 7E0C0325
	s_mov_b64 s[60:61], 0                                      // 0000000082C0: BEBC0180
	v_readlane_b32 s82, v3, 2                                  // 0000000082C4: D2890052 00010503
	s_and_b32 s82, s82, 0xffffff                               // 0000000082CC: 8652FF52 00FFFFFF
	s_cmp_lt_u32 s82, s66                                      // 0000000082D4: BF0A4252
	s_cselect_b32 s20, s36, s60                                // 0000000082D8: 85143C24
	v_readlane_b32 s82, v3, 3                                  // 0000000082DC: D2890052 00010703
	s_and_b32 s82, s82, 0xffffff                               // 0000000082E4: 8652FF52 00FFFFFF
	s_cmp_lt_u32 s82, s66                                      // 0000000082EC: BF0A4252
	s_cselect_b32 s21, s36, s60                                // 0000000082F0: 85153C24
	s_mov_b64 exec, s[20:21]                                   // 0000000082F4: BEFE0114
	global_atomic_add_f32 v6, v77, s[8:9]                      // 0000000082F8: DD348000 00084D06
	global_atomic_add_f32 v6, v81, s[8:9] offset:256           // 000000008300: DD348100 00085106
	global_atomic_add_f32 v6, v85, s[8:9] offset:512           // 000000008308: DD348200 00085506
	global_atomic_add_f32 v6, v89, s[8:9] offset:768           // 000000008310: DD348300 00085906
	s_mov_b64 exec, s[36:37]                                   // 000000008318: BEFE0124
	v_mov_b32_e32 v6, v38                                      // 00000000831C: 7E0C0326
	s_mov_b64 s[60:61], 0                                      // 000000008320: BEBC0180
	v_readlane_b32 s82, v3, 4                                  // 000000008324: D2890052 00010903
	s_and_b32 s82, s82, 0xffffff                               // 00000000832C: 8652FF52 00FFFFFF
	s_cmp_lt_u32 s82, s66                                      // 000000008334: BF0A4252
	s_cselect_b32 s20, s36, s60                                // 000000008338: 85143C24
	v_readlane_b32 s82, v3, 5                                  // 00000000833C: D2890052 00010B03
	s_and_b32 s82, s82, 0xffffff                               // 000000008344: 8652FF52 00FFFFFF
	s_cmp_lt_u32 s82, s66                                      // 00000000834C: BF0A4252
	s_cselect_b32 s21, s36, s60                                // 000000008350: 85153C24
	s_mov_b64 exec, s[20:21]                                   // 000000008354: BEFE0114
	global_atomic_add_f32 v6, v92, s[8:9]                      // 000000008358: DD348000 00085C06
	global_atomic_add_f32 v6, v96, s[8:9] offset:256           // 000000008360: DD348100 00086006
	global_atomic_add_f32 v6, v100, s[8:9] offset:512          // 000000008368: DD348200 00086406
	global_atomic_add_f32 v6, v104, s[8:9] offset:768          // 000000008370: DD348300 00086806
	s_mov_b64 exec, s[36:37]                                   // 000000008378: BEFE0124
	v_mov_b32_e32 v6, v39                                      // 00000000837C: 7E0C0327
	s_mov_b64 s[60:61], 0                                      // 000000008380: BEBC0180
	v_readlane_b32 s82, v3, 6                                  // 000000008384: D2890052 00010D03
	s_and_b32 s82, s82, 0xffffff                               // 00000000838C: 8652FF52 00FFFFFF
	s_cmp_lt_u32 s82, s66                                      // 000000008394: BF0A4252
	s_cselect_b32 s20, s36, s60                                // 000000008398: 85143C24
	v_readlane_b32 s82, v3, 7                                  // 00000000839C: D2890052 00010F03
	s_and_b32 s82, s82, 0xffffff                               // 0000000083A4: 8652FF52 00FFFFFF
	s_cmp_lt_u32 s82, s66                                      // 0000000083AC: BF0A4252
	s_cselect_b32 s21, s36, s60                                // 0000000083B0: 85153C24
	s_mov_b64 exec, s[20:21]                                   // 0000000083B4: BEFE0114
	global_atomic_add_f32 v6, v93, s[8:9]                      // 0000000083B8: DD348000 00085D06
	global_atomic_add_f32 v6, v97, s[8:9] offset:256           // 0000000083C0: DD348100 00086106
	global_atomic_add_f32 v6, v101, s[8:9] offset:512          // 0000000083C8: DD348200 00086506
	global_atomic_add_f32 v6, v105, s[8:9] offset:768          // 0000000083D0: DD348300 00086906
	s_mov_b64 exec, s[36:37]                                   // 0000000083D8: BEFE0124
	ds_write_b64 v20, v[78:79]                                 // 0000000083DC: D89A0000 00004E14
	ds_write_b64 v20, v[82:83] offset:8704                     // 0000000083E4: D89A2200 00005214
	ds_write_b64 v20, v[86:87] offset:2176                     // 0000000083EC: D89A0880 00005614
	ds_write_b64 v20, v[90:91] offset:10880                    // 0000000083F4: D89A2A80 00005A14
	ds_write_b64 v20, v[94:95] offset:4352                     // 0000000083FC: D89A1100 00005E14
	ds_write_b64 v20, v[98:99] offset:13056                    // 000000008404: D89A3300 00006214
	ds_write_b64 v20, v[102:103] offset:6528                   // 00000000840C: D89A1980 00006614
	ds_write_b64 v20, v[106:107] offset:15232                  // 000000008414: D89A3B80 00006A14
	s_waitcnt lgkmcnt(0)                                       // 00000000841C: BF8CC07F
	s_barrier                                                  // 000000008420: BF8A0000
	ds_read_b32 v78, v21                                       // 000000008424: D86C0000 4E000015
	ds_read_b32 v79, v21 offset:64                             // 00000000842C: D86C0040 4F000015
	ds_read_b32 v82, v21 offset:2176                           // 000000008434: D86C0880 52000015
	ds_read_b32 v83, v21 offset:2240                           // 00000000843C: D86C08C0 53000015
	ds_read_b32 v86, v21 offset:4352                           // 000000008444: D86C1100 56000015
	ds_read_b32 v87, v21 offset:4416                           // 00000000844C: D86C1140 57000015
	ds_read_b32 v90, v21 offset:6528                           // 000000008454: D86C1980 5A000015
	ds_read_b32 v91, v21 offset:6592                           // 00000000845C: D86C19C0 5B000015
	ds_read_b32 v94, v21 offset:8704                           // 000000008464: D86C2200 5E000015
	ds_read_b32 v95, v21 offset:8768                           // 00000000846C: D86C2240 5F000015
	ds_read_b32 v98, v21 offset:10880                          // 000000008474: D86C2A80 62000015
	ds_read_b32 v99, v21 offset:10944                          // 00000000847C: D86C2AC0 63000015
	ds_read_b32 v102, v21 offset:13056                         // 000000008484: D86C3300 66000015
	ds_read_b32 v103, v21 offset:13120                         // 00000000848C: D86C3340 67000015
	ds_read_b32 v106, v21 offset:15232                         // 000000008494: D86C3B80 6A000015
	ds_read_b32 v107, v21 offset:15296                         // 00000000849C: D86C3BC0 6B000015
	s_waitcnt lgkmcnt(0)                                       // 0000000084A4: BF8CC07F
	v_mov_b32_e32 v7, 0                                        // 0000000084A8: 7E0E0280
	s_mov_b64 exec, s[36:37]                                   // 0000000084AC: BEFE0124
	v_mov_b32_e32 v6, v36                                      // 0000000084B0: 7E0C0324
	s_mov_b64 s[60:61], 0                                      // 0000000084B4: BEBC0180
	v_readlane_b32 s82, v3, 0                                  // 0000000084B8: D2890052 00010103
	s_and_b32 s82, s82, 0xffffff                               // 0000000084C0: 8652FF52 00FFFFFF
	s_cmp_lt_u32 s82, s66                                      // 0000000084C8: BF0A4252
	s_cselect_b32 s20, s36, s60                                // 0000000084CC: 85143C24
	v_readlane_b32 s82, v3, 1                                  // 0000000084D0: D2890052 00010303
	s_and_b32 s82, s82, 0xffffff                               // 0000000084D8: 8652FF52 00FFFFFF
	s_cmp_lt_u32 s82, s66                                      // 0000000084E0: BF0A4252
	s_cselect_b32 s21, s36, s60                                // 0000000084E4: 85153C24
	s_mov_b64 exec, s[20:21]                                   // 0000000084E8: BEFE0114
	global_atomic_add_f32 v6, v78, s[8:9] offset:8             // 0000000084EC: DD348008 00084E06
	global_atomic_add_f32 v6, v82, s[8:9] offset:264           // 0000000084F4: DD348108 00085206
	global_atomic_add_f32 v6, v86, s[8:9] offset:520           // 0000000084FC: DD348208 00085606
	global_atomic_add_f32 v6, v90, s[8:9] offset:776           // 000000008504: DD348308 00085A06
	s_mov_b64 exec, s[36:37]                                   // 00000000850C: BEFE0124
	v_mov_b32_e32 v6, v37                                      // 000000008510: 7E0C0325
	s_mov_b64 s[60:61], 0                                      // 000000008514: BEBC0180
	v_readlane_b32 s82, v3, 2                                  // 000000008518: D2890052 00010503
	s_and_b32 s82, s82, 0xffffff                               // 000000008520: 8652FF52 00FFFFFF
	s_cmp_lt_u32 s82, s66                                      // 000000008528: BF0A4252
	s_cselect_b32 s20, s36, s60                                // 00000000852C: 85143C24
	v_readlane_b32 s82, v3, 3                                  // 000000008530: D2890052 00010703
	s_and_b32 s82, s82, 0xffffff                               // 000000008538: 8652FF52 00FFFFFF
	s_cmp_lt_u32 s82, s66                                      // 000000008540: BF0A4252
	s_cselect_b32 s21, s36, s60                                // 000000008544: 85153C24
	s_mov_b64 exec, s[20:21]                                   // 000000008548: BEFE0114
	global_atomic_add_f32 v6, v79, s[8:9] offset:8             // 00000000854C: DD348008 00084F06
	global_atomic_add_f32 v6, v83, s[8:9] offset:264           // 000000008554: DD348108 00085306
	global_atomic_add_f32 v6, v87, s[8:9] offset:520           // 00000000855C: DD348208 00085706
	global_atomic_add_f32 v6, v91, s[8:9] offset:776           // 000000008564: DD348308 00085B06
	s_mov_b64 exec, s[36:37]                                   // 00000000856C: BEFE0124
	v_mov_b32_e32 v6, v38                                      // 000000008570: 7E0C0326
	s_mov_b64 s[60:61], 0                                      // 000000008574: BEBC0180
	v_readlane_b32 s82, v3, 4                                  // 000000008578: D2890052 00010903
	s_and_b32 s82, s82, 0xffffff                               // 000000008580: 8652FF52 00FFFFFF
	s_cmp_lt_u32 s82, s66                                      // 000000008588: BF0A4252
	s_cselect_b32 s20, s36, s60                                // 00000000858C: 85143C24
	v_readlane_b32 s82, v3, 5                                  // 000000008590: D2890052 00010B03
	s_and_b32 s82, s82, 0xffffff                               // 000000008598: 8652FF52 00FFFFFF
	s_cmp_lt_u32 s82, s66                                      // 0000000085A0: BF0A4252
	s_cselect_b32 s21, s36, s60                                // 0000000085A4: 85153C24
	s_mov_b64 exec, s[20:21]                                   // 0000000085A8: BEFE0114
	global_atomic_add_f32 v6, v94, s[8:9] offset:8             // 0000000085AC: DD348008 00085E06
	global_atomic_add_f32 v6, v98, s[8:9] offset:264           // 0000000085B4: DD348108 00086206
	global_atomic_add_f32 v6, v102, s[8:9] offset:520          // 0000000085BC: DD348208 00086606
	global_atomic_add_f32 v6, v106, s[8:9] offset:776          // 0000000085C4: DD348308 00086A06
	s_mov_b64 exec, s[36:37]                                   // 0000000085CC: BEFE0124
	v_mov_b32_e32 v6, v39                                      // 0000000085D0: 7E0C0327
	s_mov_b64 s[60:61], 0                                      // 0000000085D4: BEBC0180
	v_readlane_b32 s82, v3, 6                                  // 0000000085D8: D2890052 00010D03
	s_and_b32 s82, s82, 0xffffff                               // 0000000085E0: 8652FF52 00FFFFFF
	s_cmp_lt_u32 s82, s66                                      // 0000000085E8: BF0A4252
	s_cselect_b32 s20, s36, s60                                // 0000000085EC: 85143C24
	v_readlane_b32 s82, v3, 7                                  // 0000000085F0: D2890052 00010F03
	s_and_b32 s82, s82, 0xffffff                               // 0000000085F8: 8652FF52 00FFFFFF
	s_cmp_lt_u32 s82, s66                                      // 000000008600: BF0A4252
	s_cselect_b32 s21, s36, s60                                // 000000008604: 85153C24
	s_mov_b64 exec, s[20:21]                                   // 000000008608: BEFE0114
	global_atomic_add_f32 v6, v95, s[8:9] offset:8             // 00000000860C: DD348008 00085F06
	global_atomic_add_f32 v6, v99, s[8:9] offset:264           // 000000008614: DD348108 00086306
	global_atomic_add_f32 v6, v103, s[8:9] offset:520          // 00000000861C: DD348208 00086706
	global_atomic_add_f32 v6, v107, s[8:9] offset:776          // 000000008624: DD348308 00086B06
	s_mov_b64 exec, s[36:37]                                   // 00000000862C: BEFE0124
	s_branch label_1710                                        // 000000008630: BF820000

0000000000008634 <label_1710>:
	s_waitcnt vmcnt(0) expcnt(0) lgkmcnt(0)                    // 000000008634: BF8C0000
	s_endpgm                                                   // 000000008638: BF810000
